;; amdgpu-corpus repo=ROCm/rocFFT kind=compiled arch=gfx1030 opt=O3
	.text
	.amdgcn_target "amdgcn-amd-amdhsa--gfx1030"
	.amdhsa_code_object_version 6
	.protected	bluestein_single_back_len1372_dim1_sp_op_CI_CI ; -- Begin function bluestein_single_back_len1372_dim1_sp_op_CI_CI
	.globl	bluestein_single_back_len1372_dim1_sp_op_CI_CI
	.p2align	8
	.type	bluestein_single_back_len1372_dim1_sp_op_CI_CI,@function
bluestein_single_back_len1372_dim1_sp_op_CI_CI: ; @bluestein_single_back_len1372_dim1_sp_op_CI_CI
; %bb.0:
	s_load_dwordx4 s[12:15], s[4:5], 0x28
	v_mul_u32_u24_e32 v1, 0x29d, v0
	v_mov_b32_e32 v125, 0
	s_mov_b32 s0, exec_lo
	v_lshrrev_b32_e32 v1, 16, v1
	v_lshl_add_u32 v124, s6, 1, v1
	s_waitcnt lgkmcnt(0)
	v_cmpx_gt_u64_e64 s[12:13], v[124:125]
	s_cbranch_execz .LBB0_2
; %bb.1:
	s_clause 0x1
	s_load_dwordx4 s[0:3], s[4:5], 0x18
	s_load_dwordx4 s[8:11], s[4:5], 0x0
	v_mul_lo_u16 v2, 0x62, v1
	v_sub_nc_u16 v24, v0, v2
	v_and_b32_e32 v150, 0xffff, v24
	v_lshlrev_b32_e32 v35, 3, v150
	v_lshlrev_b32_e32 v49, 1, v150
	v_and_b32_e32 v50, 1, v150
	s_waitcnt lgkmcnt(0)
	s_load_dwordx4 s[16:19], s[0:1], 0x0
	s_clause 0x2
	global_load_dwordx2 v[100:101], v35, s[8:9]
	global_load_dwordx2 v[98:99], v35, s[8:9] offset:784
	global_load_dwordx2 v[96:97], v35, s[8:9] offset:1568
	v_add_co_u32 v76, s0, s8, v35
	v_add_co_ci_u32_e64 v77, null, s9, 0, s0
	v_add_nc_u32_e32 v51, 0x188, v49
	v_add_co_u32 v2, vcc_lo, 0x1000, v76
	v_add_co_ci_u32_e32 v3, vcc_lo, 0, v77, vcc_lo
	v_add_co_u32 v4, vcc_lo, 0x1800, v76
	v_add_co_ci_u32_e32 v5, vcc_lo, 0, v77, vcc_lo
	s_clause 0x3
	global_load_dwordx2 v[102:103], v[2:3], off offset:1392
	global_load_dwordx2 v[108:109], v[4:5], off offset:128
	;; [unrolled: 1-line block ×4, first 2 shown]
	s_waitcnt lgkmcnt(0)
	v_mad_u64_u32 v[6:7], null, s18, v124, 0
	v_mad_u64_u32 v[8:9], null, s16, v150, 0
	v_add_co_u32 v10, vcc_lo, 0x800, v76
	v_add_co_ci_u32_e32 v11, vcc_lo, 0, v77, vcc_lo
	v_mov_b32_e32 v0, v7
	v_add_co_u32 v12, vcc_lo, 0x2000, v76
	v_mov_b32_e32 v7, v9
	v_add_co_ci_u32_e32 v13, vcc_lo, 0, v77, vcc_lo
	v_mad_u64_u32 v[4:5], null, s19, v124, v[0:1]
	v_mad_u64_u32 v[14:15], null, s17, v150, v[7:8]
	s_mul_i32 s0, s17, 0x1570
	s_mul_hi_u32 s1, s16, 0x1570
	s_mul_i32 s6, s16, 0x1570
	s_add_i32 s1, s1, s0
	v_mov_b32_e32 v7, v4
	s_mul_hi_u32 s8, s16, 0xffffeda0
	v_mov_b32_e32 v9, v14
	s_mul_i32 s7, s17, 0xffffeda0
	s_mul_i32 s9, s16, 0xffffeda0
	v_lshlrev_b64 v[4:5], 3, v[6:7]
	s_sub_i32 s0, s8, s16
	v_lshlrev_b64 v[6:7], 3, v[8:9]
	s_add_i32 s0, s0, s7
	s_clause 0x4
	global_load_dwordx2 v[116:117], v[10:11], off offset:304
	global_load_dwordx2 v[112:113], v[10:11], off offset:1088
	;; [unrolled: 1-line block ×5, first 2 shown]
	v_add_nc_u32_e32 v52, 0x24c, v49
	v_add_co_u32 v0, vcc_lo, s14, v4
	v_add_co_ci_u32_e32 v5, vcc_lo, s15, v5, vcc_lo
	v_add_nc_u32_e32 v53, 0x310, v49
	v_add_co_u32 v4, vcc_lo, v0, v6
	v_add_co_ci_u32_e32 v5, vcc_lo, v5, v7, vcc_lo
	v_and_b32_e32 v0, 1, v1
	v_add_co_u32 v6, vcc_lo, v4, s6
	v_add_co_ci_u32_e32 v7, vcc_lo, s1, v5, vcc_lo
	global_load_dwordx2 v[4:5], v[4:5], off
	v_add_co_u32 v8, vcc_lo, v6, s9
	v_add_co_ci_u32_e32 v9, vcc_lo, s0, v7, vcc_lo
	global_load_dwordx2 v[6:7], v[6:7], off
	v_add_co_u32 v10, vcc_lo, v8, s6
	v_add_co_ci_u32_e32 v11, vcc_lo, s1, v9, vcc_lo
	v_add_nc_u32_e32 v54, 0x3d4, v49
	v_add_co_u32 v14, vcc_lo, v10, s9
	v_add_co_ci_u32_e32 v15, vcc_lo, s0, v11, vcc_lo
	s_clause 0x1
	global_load_dwordx2 v[8:9], v[8:9], off
	global_load_dwordx2 v[10:11], v[10:11], off
	v_add_co_u32 v16, vcc_lo, v14, s6
	v_add_co_ci_u32_e32 v17, vcc_lo, s1, v15, vcc_lo
	global_load_dwordx2 v[14:15], v[14:15], off
	v_add_co_u32 v18, vcc_lo, v16, s9
	v_add_co_ci_u32_e32 v19, vcc_lo, s0, v17, vcc_lo
	;; [unrolled: 3-line block ×9, first 2 shown]
	global_load_dwordx2 v[120:121], v[2:3], off offset:608
	global_load_dwordx2 v[2:3], v[31:32], off
	global_load_dwordx2 v[122:123], v[12:13], off offset:2000
	global_load_dwordx2 v[12:13], v[25:26], off
	v_cmp_eq_u32_e32 vcc_lo, 1, v0
	s_load_dwordx4 s[0:3], s[2:3], 0x0
	v_add_co_u32 v25, null, 0x62, v150
	v_add_nc_u32_e32 v55, 0x498, v49
	v_cndmask_b32_e64 v48, 0, 0x2ae0, vcc_lo
	v_lshlrev_b32_e32 v56, 3, v50
	s_load_dwordx2 s[6:7], s[4:5], 0x38
	s_mov_b32 s4, 0x515a4f1d
	s_mov_b32 s5, 0x3f47e225
	v_add_nc_u32_e32 v143, v48, v35
	v_lshl_add_u32 v151, v150, 4, v48
	v_lshl_add_u32 v152, v25, 4, v48
	;; [unrolled: 1-line block ×4, first 2 shown]
	v_add_nc_u32_e32 v148, 0x1800, v143
	v_add_nc_u32_e32 v147, 0x400, v143
	;; [unrolled: 1-line block ×6, first 2 shown]
	v_lshl_add_u32 v155, v53, 3, v48
	v_lshl_add_u32 v156, v54, 3, v48
	;; [unrolled: 1-line block ×3, first 2 shown]
	s_waitcnt lgkmcnt(0)
	s_mul_i32 s9, s1, 0x1570
	s_mul_hi_u32 s8, s0, 0xffffeda0
	s_sub_i32 s8, s8, s0
	s_waitcnt vmcnt(15)
	v_mul_f32_e32 v0, v5, v101
	v_mul_f32_e32 v1, v4, v101
	v_fmac_f32_e32 v0, v4, v100
	s_waitcnt vmcnt(14)
	v_mul_f32_e32 v4, v7, v103
	v_mul_f32_e32 v26, v6, v103
	v_fma_f32 v1, v5, v100, -v1
	v_fmac_f32_e32 v4, v6, v102
	v_fma_f32 v5, v7, v102, -v26
	s_waitcnt vmcnt(13)
	v_mul_f32_e32 v31, v9, v99
	v_mul_f32_e32 v32, v8, v99
	s_waitcnt vmcnt(12)
	v_mul_f32_e32 v6, v11, v109
	ds_write_b64 v143, v[4:5] offset:5488
	v_mul_f32_e32 v4, v10, v109
	v_fmac_f32_e32 v31, v8, v98
	v_fma_f32 v32, v9, v98, -v32
	v_fmac_f32_e32 v6, v10, v108
	s_waitcnt vmcnt(11)
	v_mul_f32_e32 v5, v14, v97
	v_fma_f32 v7, v11, v108, -v4
	v_mul_f32_e32 v4, v15, v97
	ds_write2_b64 v143, v[0:1], v[31:32] offset1:98
	s_waitcnt vmcnt(10)
	v_mul_f32_e32 v0, v17, v107
	v_mul_f32_e32 v1, v16, v107
	v_fma_f32 v5, v15, v96, -v5
	v_fmac_f32_e32 v4, v14, v96
	s_waitcnt vmcnt(9)
	v_mul_f32_e32 v8, v19, v117
	v_fmac_f32_e32 v0, v16, v106
	v_fma_f32 v1, v17, v106, -v1
	v_mul_f32_e32 v9, v18, v117
	v_fmac_f32_e32 v8, v18, v116
	ds_write2_b64 v148, v[6:7], v[0:1] offset0:16 offset1:114
	s_waitcnt vmcnt(8)
	v_mul_f32_e32 v0, v21, v105
	v_mul_f32_e32 v1, v20, v105
	s_waitcnt vmcnt(7)
	v_mul_f32_e32 v6, v23, v113
	v_mul_f32_e32 v7, v22, v113
	v_fma_f32 v9, v19, v116, -v9
	v_fmac_f32_e32 v0, v20, v104
	v_fma_f32 v1, v21, v104, -v1
	s_waitcnt vmcnt(6)
	v_mul_f32_e32 v10, v30, v115
	v_mul_f32_e32 v11, v29, v115
	v_fmac_f32_e32 v6, v22, v112
	v_fma_f32 v7, v23, v112, -v7
	s_waitcnt vmcnt(5)
	v_mul_f32_e32 v14, v28, v111
	v_mul_f32_e32 v15, v27, v111
	;; [unrolled: 5-line block ×3, first 2 shown]
	v_fmac_f32_e32 v14, v27, v110
	s_waitcnt vmcnt(2)
	v_mul_f32_e32 v18, v3, v121
	v_mul_f32_e32 v19, v2, v121
	s_waitcnt vmcnt(0)
	v_mul_f32_e32 v20, v13, v123
	v_mul_f32_e32 v21, v12, v123
	v_fma_f32 v15, v28, v110, -v15
	v_fmac_f32_e32 v18, v2, v120
	v_fma_f32 v19, v3, v120, -v19
	v_fmac_f32_e32 v16, v33, v118
	v_fma_f32 v17, v34, v118, -v17
	v_fmac_f32_e32 v20, v12, v122
	v_fma_f32 v21, v13, v122, -v21
	ds_write2_b64 v147, v[4:5], v[8:9] offset0:68 offset1:166
	ds_write2_b64 v146, v[0:1], v[10:11] offset0:84 offset1:182
	;; [unrolled: 1-line block ×3, first 2 shown]
	ds_write_b64 v143, v[18:19] offset:4704
	ds_write2_b64 v144, v[16:17], v[20:21] offset0:152 offset1:250
	s_waitcnt lgkmcnt(0)
	s_barrier
	buffer_gl0_inv
	ds_read2_b64 v[0:3], v143 offset1:98
	ds_read2_b64 v[4:7], v149 offset0:76 offset1:174
	ds_read2_b64 v[8:11], v148 offset0:16 offset1:114
	;; [unrolled: 1-line block ×6, first 2 shown]
	s_waitcnt lgkmcnt(0)
	s_barrier
	buffer_gl0_inv
	v_sub_f32_e32 v30, v0, v6
	v_sub_f32_e32 v31, v1, v7
	v_sub_f32_e32 v8, v2, v8
	v_sub_f32_e32 v9, v3, v9
	v_sub_f32_e32 v34, v12, v10
	v_sub_f32_e32 v35, v13, v11
	v_sub_f32_e32 v16, v14, v16
	v_sub_f32_e32 v17, v15, v17
	v_sub_f32_e32 v38, v20, v18
	v_sub_f32_e32 v39, v21, v19
	v_sub_f32_e32 v42, v22, v26
	v_sub_f32_e32 v43, v23, v27
	v_sub_f32_e32 v46, v4, v28
	v_sub_f32_e32 v47, v5, v29
	v_fma_f32 v28, v0, 2.0, -v30
	v_fma_f32 v29, v1, 2.0, -v31
	;; [unrolled: 1-line block ×14, first 2 shown]
	ds_write_b128 v151, v[28:31]
	ds_write_b128 v152, v[6:9]
	;; [unrolled: 1-line block ×7, first 2 shown]
	s_waitcnt lgkmcnt(0)
	s_barrier
	buffer_gl0_inv
	global_load_dwordx2 v[125:126], v56, s[10:11]
	v_lshlrev_b32_e32 v1, 1, v25
	v_and_or_b32 v0, 0xfc, v49, v50
	v_and_or_b32 v13, 0x3fc, v51, v50
	;; [unrolled: 1-line block ×3, first 2 shown]
	ds_read2_b64 v[4:7], v148 offset0:16 offset1:114
	v_and_or_b32 v12, 0x1fc, v1, v50
	v_lshl_add_u32 v158, v0, 3, v48
	ds_read2_b64 v[0:3], v149 offset0:76 offset1:174
	ds_read2_b64 v[8:11], v146 offset0:84 offset1:182
	v_lshl_add_u32 v160, v13, 3, v48
	v_lshl_add_u32 v159, v12, 3, v48
	;; [unrolled: 1-line block ×3, first 2 shown]
	ds_read2_b64 v[12:15], v144 offset0:152 offset1:250
	v_and_or_b32 v16, 0x7fc, v53, v50
	v_and_or_b32 v17, 0x7fc, v54, v50
	;; [unrolled: 1-line block ×3, first 2 shown]
	v_and_b32_e32 v26, 3, v150
	v_and_b32_e32 v27, 3, v25
	v_lshl_add_u32 v162, v16, 3, v48
	v_lshl_add_u32 v163, v17, 3, v48
	;; [unrolled: 1-line block ×3, first 2 shown]
	ds_read2_b64 v[16:19], v143 offset1:98
	ds_read2_b64 v[20:23], v147 offset0:68 offset1:166
	ds_read2_b64 v[28:31], v145 offset0:136 offset1:234
	v_mad_u64_u32 v[32:33], null, v26, 48, s[10:11]
	v_mad_u64_u32 v[34:35], null, v27, 48, s[10:11]
	s_waitcnt vmcnt(0) lgkmcnt(0)
	s_barrier
	buffer_gl0_inv
	v_mul_f32_e32 v36, v3, v126
	v_mul_f32_e32 v37, v2, v126
	;; [unrolled: 1-line block ×14, first 2 shown]
	v_fma_f32 v2, v2, v125, -v36
	v_fmac_f32_e32 v37, v3, v125
	v_fma_f32 v4, v4, v125, -v38
	v_fmac_f32_e32 v39, v5, v125
	;; [unrolled: 2-line block ×7, first 2 shown]
	v_sub_f32_e32 v2, v16, v2
	v_sub_f32_e32 v3, v17, v37
	;; [unrolled: 1-line block ×14, first 2 shown]
	v_fma_f32 v16, v16, 2.0, -v2
	v_fma_f32 v17, v17, 2.0, -v3
	;; [unrolled: 1-line block ×14, first 2 shown]
	ds_write2_b64 v158, v[16:17], v[2:3] offset1:2
	ds_write2_b64 v159, v[18:19], v[4:5] offset1:2
	;; [unrolled: 1-line block ×7, first 2 shown]
	s_waitcnt lgkmcnt(0)
	s_barrier
	buffer_gl0_inv
	s_clause 0x5
	global_load_dwordx4 v[20:23], v[32:33], off offset:16
	global_load_dwordx4 v[16:19], v[34:35], off offset:16
	;; [unrolled: 1-line block ×6, first 2 shown]
	v_lshrrev_b16 v28, 2, v24
	v_lshrrev_b16 v29, 2, v25
	v_lshrrev_b32_e32 v30, 2, v150
	v_and_b32_e32 v28, 63, v28
	v_and_b32_e32 v29, 63, v29
	v_mul_u32_u24_e32 v30, 28, v30
	v_mul_lo_u16 v28, v28, 37
	v_mul_lo_u16 v29, v29, 37
	v_or_b32_e32 v26, v30, v26
	v_lshrrev_b16 v49, 8, v28
	v_lshrrev_b32_e32 v28, 2, v25
	v_lshrrev_b16 v50, 8, v29
	v_lshl_add_u32 v165, v26, 3, v48
	v_mul_lo_u16 v29, v49, 28
	v_mul_u32_u24_e32 v32, 28, v28
	v_mul_lo_u16 v36, v50, 28
	v_sub_nc_u16 v24, v24, v29
	v_or_b32_e32 v37, v32, v27
	v_sub_nc_u16 v36, v25, v36
	ds_read2_b64 v[28:31], v147 offset0:68 offset1:166
	ds_read2_b64 v[32:35], v145 offset0:136 offset1:234
	v_and_b32_e32 v51, 0xff, v24
	ds_read2_b64 v[24:27], v149 offset0:76 offset1:174
	v_lshl_add_u32 v166, v37, 3, v48
	v_and_b32_e32 v52, 0xff, v36
	ds_read2_b64 v[36:39], v148 offset0:16 offset1:114
	ds_read2_b64 v[40:43], v146 offset0:84 offset1:182
	;; [unrolled: 1-line block ×3, first 2 shown]
	ds_read2_b64 v[53:56], v143 offset1:98
	v_mad_u64_u32 v[57:58], null, v51, 48, s[10:11]
	v_mad_u64_u32 v[59:60], null, v52, 48, s[10:11]
	s_waitcnt vmcnt(0) lgkmcnt(0)
	s_barrier
	buffer_gl0_inv
	v_mul_f32_e32 v61, v29, v21
	v_mul_f32_e32 v62, v28, v21
	;; [unrolled: 1-line block ×24, first 2 shown]
	v_fma_f32 v28, v28, v20, -v61
	v_fmac_f32_e32 v62, v29, v20
	v_fma_f32 v29, v30, v16, -v65
	v_fmac_f32_e32 v66, v31, v16
	;; [unrolled: 2-line block ×3, first 2 shown]
	v_fma_f32 v31, v34, v18, -v69
	v_fma_f32 v32, v40, v4, -v79
	v_fmac_f32_e32 v80, v41, v4
	v_fma_f32 v34, v44, v6, -v83
	v_fmac_f32_e32 v84, v45, v6
	v_fmac_f32_e32 v70, v35, v18
	v_fma_f32 v24, v24, v12, -v67
	v_fmac_f32_e32 v68, v25, v12
	v_fma_f32 v25, v26, v8, -v73
	;; [unrolled: 2-line block ×6, first 2 shown]
	v_fmac_f32_e32 v86, v47, v2
	v_add_f32_e32 v36, v28, v34
	v_add_f32_e32 v37, v30, v32
	;; [unrolled: 1-line block ×12, first 2 shown]
	v_sub_f32_e32 v28, v28, v34
	v_sub_f32_e32 v34, v62, v84
	v_sub_f32_e32 v30, v30, v32
	v_sub_f32_e32 v32, v64, v80
	v_sub_f32_e32 v24, v26, v24
	v_sub_f32_e32 v26, v72, v68
	v_sub_f32_e32 v29, v29, v35
	v_sub_f32_e32 v31, v31, v33
	v_sub_f32_e32 v25, v27, v25
	v_sub_f32_e32 v33, v70, v82
	v_sub_f32_e32 v27, v78, v74
	v_add_f32_e32 v61, v37, v36
	v_add_f32_e32 v62, v40, v39
	v_sub_f32_e32 v35, v66, v86
	v_add_f32_e32 v63, v43, v42
	v_add_f32_e32 v64, v46, v45
	v_sub_f32_e32 v65, v36, v38
	v_sub_f32_e32 v66, v38, v37
	;; [unrolled: 1-line block ×4, first 2 shown]
	v_add_f32_e32 v69, v24, v30
	v_sub_f32_e32 v70, v24, v30
	v_sub_f32_e32 v71, v28, v24
	v_add_f32_e32 v24, v26, v32
	v_sub_f32_e32 v72, v26, v32
	v_sub_f32_e32 v73, v34, v26
	;; [unrolled: 1-line block ×11, first 2 shown]
	v_add_f32_e32 v46, v25, v31
	v_sub_f32_e32 v74, v25, v31
	v_sub_f32_e32 v31, v31, v29
	;; [unrolled: 1-line block ×3, first 2 shown]
	v_add_f32_e32 v25, v27, v33
	v_sub_f32_e32 v78, v27, v33
	v_add_f32_e32 v38, v38, v61
	v_add_f32_e32 v41, v41, v62
	v_sub_f32_e32 v32, v32, v34
	v_sub_f32_e32 v33, v33, v35
	v_add_f32_e32 v44, v44, v63
	v_add_f32_e32 v47, v47, v64
	v_mul_f32_e32 v61, 0x3f4a47b2, v65
	v_mul_f32_e32 v62, 0xbf08b237, v70
	v_mul_f32_e32 v63, 0x3f4a47b2, v67
	v_mul_f32_e32 v64, 0xbf08b237, v72
	v_mul_f32_e32 v65, 0x3d64c772, v66
	v_mul_f32_e32 v67, 0xbf5ff5aa, v30
	v_mul_f32_e32 v70, 0x3d64c772, v68
	v_add_f32_e32 v29, v46, v29
	v_mul_f32_e32 v46, 0x3f4a47b2, v26
	v_mul_f32_e32 v72, 0x3d64c772, v40
	;; [unrolled: 1-line block ×6, first 2 shown]
	v_sub_f32_e32 v79, v35, v27
	v_add_f32_e32 v34, v24, v34
	v_add_f32_e32 v35, v25, v35
	v_mul_f32_e32 v78, 0xbf08b237, v78
	v_add_f32_e32 v24, v53, v38
	v_add_f32_e32 v25, v54, v41
	;; [unrolled: 1-line block ×3, first 2 shown]
	v_mul_f32_e32 v69, 0xbf5ff5aa, v32
	v_mul_f32_e32 v82, 0xbf5ff5aa, v33
	v_add_f32_e32 v26, v55, v44
	v_add_f32_e32 v27, v56, v47
	v_fmamk_f32 v53, v71, 0x3eae86e6, v62
	v_fmamk_f32 v55, v66, 0x3d64c772, v61
	;; [unrolled: 1-line block ×3, first 2 shown]
	v_fma_f32 v65, 0x3f3bfb3b, v36, -v65
	v_fma_f32 v36, 0xbf3bfb3b, v36, -v61
	;; [unrolled: 1-line block ×3, first 2 shown]
	v_fmac_f32_e32 v67, 0xbeae86e6, v71
	v_fma_f32 v62, 0x3f5ff5aa, v32, -v64
	v_fma_f32 v30, 0x3f3bfb3b, v37, -v70
	;; [unrolled: 1-line block ×3, first 2 shown]
	v_fmamk_f32 v37, v40, 0x3d64c772, v46
	v_fma_f32 v40, 0x3f3bfb3b, v39, -v72
	v_fma_f32 v39, 0xbf3bfb3b, v39, -v46
	v_fmamk_f32 v45, v45, 0x3d64c772, v43
	v_fma_f32 v46, 0x3f3bfb3b, v42, -v80
	v_fma_f32 v42, 0xbf3bfb3b, v42, -v43
	;; [unrolled: 1-line block ×3, first 2 shown]
	v_fmamk_f32 v63, v75, 0x3eae86e6, v74
	v_fmac_f32_e32 v81, 0xbeae86e6, v75
	v_fmamk_f32 v54, v73, 0x3eae86e6, v64
	v_fma_f32 v64, 0x3f5ff5aa, v33, -v78
	v_fmamk_f32 v31, v38, 0xbf955555, v24
	v_fmamk_f32 v33, v41, 0xbf955555, v25
	v_fmac_f32_e32 v69, 0xbeae86e6, v73
	v_fmamk_f32 v66, v79, 0x3eae86e6, v78
	v_fmac_f32_e32 v82, 0xbeae86e6, v79
	v_fmac_f32_e32 v53, 0x3ee1c552, v28
	;; [unrolled: 1-line block ×7, first 2 shown]
	v_fmamk_f32 v28, v44, 0xbf955555, v26
	v_fmamk_f32 v29, v47, 0xbf955555, v27
	v_fmac_f32_e32 v54, 0x3ee1c552, v34
	v_add_f32_e32 v38, v55, v31
	v_add_f32_e32 v41, v56, v33
	v_fmac_f32_e32 v62, 0x3ee1c552, v34
	v_fmac_f32_e32 v69, 0x3ee1c552, v34
	;; [unrolled: 1-line block ×5, first 2 shown]
	v_add_f32_e32 v34, v65, v31
	v_add_f32_e32 v36, v36, v31
	;; [unrolled: 1-line block ×11, first 2 shown]
	v_sub_f32_e32 v29, v41, v53
	v_add_f32_e32 v30, v69, v36
	v_sub_f32_e32 v31, v44, v67
	v_sub_f32_e32 v32, v34, v62
	v_add_f32_e32 v33, v61, v35
	v_add_f32_e32 v34, v62, v34
	v_sub_f32_e32 v35, v35, v61
	v_sub_f32_e32 v36, v36, v69
	v_add_f32_e32 v37, v67, v44
	v_sub_f32_e32 v38, v38, v54
	v_add_f32_e32 v39, v53, v41
	v_sub_f32_e32 v40, v47, v64
	v_add_f32_e32 v41, v43, v45
	v_add_f32_e32 v42, v64, v47
	v_sub_f32_e32 v43, v45, v43
	v_add_f32_e32 v44, v82, v56
	v_sub_f32_e32 v45, v68, v81
	v_sub_f32_e32 v46, v56, v82
	v_add_f32_e32 v47, v81, v68
	v_add_f32_e32 v53, v66, v55
	v_sub_f32_e32 v54, v65, v63
	v_sub_f32_e32 v55, v55, v66
	v_add_f32_e32 v56, v63, v65
	ds_write2_b64 v165, v[24:25], v[28:29] offset1:4
	ds_write2_b64 v165, v[30:31], v[32:33] offset0:8 offset1:12
	ds_write2_b64 v165, v[34:35], v[36:37] offset0:16 offset1:20
	ds_write_b64 v165, v[38:39] offset:192
	ds_write2_b64 v166, v[26:27], v[53:54] offset1:4
	ds_write2_b64 v166, v[44:45], v[40:41] offset0:8 offset1:12
	ds_write2_b64 v166, v[42:43], v[46:47] offset0:16 offset1:20
	ds_write_b64 v166, v[55:56] offset:192
	s_waitcnt lgkmcnt(0)
	s_barrier
	buffer_gl0_inv
	s_clause 0x5
	global_load_dwordx4 v[28:31], v[57:58], off offset:208
	global_load_dwordx4 v[24:27], v[59:60], off offset:208
	global_load_dwordx4 v[32:35], v[57:58], off offset:224
	global_load_dwordx4 v[36:39], v[59:60], off offset:224
	global_load_dwordx4 v[40:43], v[57:58], off offset:240
	global_load_dwordx4 v[44:47], v[59:60], off offset:240
	v_mov_b32_e32 v53, 0xc4
	ds_read2_b64 v[57:60], v145 offset0:136 offset1:234
	ds_read2_b64 v[66:69], v148 offset0:16 offset1:114
	v_mad_u64_u32 v[64:65], null, v150, 48, s[10:11]
	v_mul_u32_u24_sdwa v50, v50, v53 dst_sel:DWORD dst_unused:UNUSED_PAD src0_sel:WORD_0 src1_sel:DWORD
	v_mul_u32_u24_sdwa v49, v49, v53 dst_sel:DWORD dst_unused:UNUSED_PAD src0_sel:WORD_0 src1_sel:DWORD
	ds_read2_b64 v[53:56], v147 offset0:68 offset1:166
	s_mul_hi_u32 s10, s0, 0x1570
	v_add_nc_u32_e32 v70, v50, v52
	v_add_nc_u32_e32 v63, v49, v51
	ds_read2_b64 v[49:52], v149 offset0:76 offset1:174
	v_add_co_u32 v61, vcc_lo, 0x1800, v64
	v_lshl_add_u32 v167, v70, 3, v48
	ds_read2_b64 v[70:73], v146 offset0:84 offset1:182
	ds_read2_b64 v[78:81], v144 offset0:152 offset1:250
	ds_read2_b64 v[82:85], v143 offset1:98
	v_lshl_add_u32 v168, v63, 3, v48
	v_add_co_ci_u32_e32 v62, vcc_lo, 0, v65, vcc_lo
	s_waitcnt vmcnt(0) lgkmcnt(0)
	s_barrier
	buffer_gl0_inv
	v_mul_f32_e32 v48, v54, v29
	v_mul_f32_e32 v63, v53, v29
	;; [unrolled: 1-line block ×24, first 2 shown]
	v_fma_f32 v48, v53, v28, -v48
	v_fmac_f32_e32 v63, v54, v28
	v_fmac_f32_e32 v75, v56, v24
	v_fma_f32 v54, v57, v30, -v86
	v_fmac_f32_e32 v87, v58, v30
	v_fma_f32 v56, v70, v40, -v129
	;; [unrolled: 2-line block ×4, first 2 shown]
	v_fma_f32 v55, v59, v26, -v88
	v_fmac_f32_e32 v89, v60, v26
	v_fma_f32 v49, v49, v32, -v90
	v_fmac_f32_e32 v91, v50, v32
	v_fma_f32 v50, v51, v36, -v92
	v_fma_f32 v51, v66, v34, -v94
	v_fmac_f32_e32 v95, v67, v34
	v_fma_f32 v57, v72, v44, -v131
	v_fmac_f32_e32 v132, v73, v44
	;; [unrolled: 2-line block ×3, first 2 shown]
	v_fmac_f32_e32 v93, v52, v36
	v_fma_f32 v52, v68, v38, -v127
	v_fmac_f32_e32 v128, v69, v38
	v_add_f32_e32 v60, v48, v58
	v_add_f32_e32 v66, v54, v56
	;; [unrolled: 1-line block ×9, first 2 shown]
	v_sub_f32_e32 v48, v48, v58
	v_sub_f32_e32 v63, v63, v134
	;; [unrolled: 1-line block ×6, first 2 shown]
	v_add_f32_e32 v70, v91, v95
	v_add_f32_e32 v73, v50, v52
	;; [unrolled: 1-line block ×3, first 2 shown]
	v_sub_f32_e32 v53, v53, v59
	v_sub_f32_e32 v59, v75, v136
	;; [unrolled: 1-line block ×6, first 2 shown]
	v_add_f32_e32 v75, v66, v60
	v_add_f32_e32 v79, v69, v68
	;; [unrolled: 1-line block ×4, first 2 shown]
	v_sub_f32_e32 v86, v60, v67
	v_add_f32_e32 v90, v49, v54
	v_sub_f32_e32 v91, v49, v54
	v_sub_f32_e32 v92, v48, v49
	v_add_f32_e32 v49, v51, v56
	v_sub_f32_e32 v93, v51, v56
	v_sub_f32_e32 v56, v56, v63
	;; [unrolled: 1-line block ×12, first 2 shown]
	v_add_f32_e32 v127, v50, v55
	v_sub_f32_e32 v71, v72, v71
	v_sub_f32_e32 v72, v50, v55
	;; [unrolled: 1-line block ×4, first 2 shown]
	v_add_f32_e32 v50, v52, v57
	v_sub_f32_e32 v78, v52, v57
	v_sub_f32_e32 v57, v57, v59
	v_add_f32_e32 v67, v67, v75
	v_add_f32_e32 v70, v70, v79
	v_sub_f32_e32 v54, v54, v48
	v_add_f32_e32 v73, v73, v80
	v_add_f32_e32 v58, v58, v81
	v_mul_f32_e32 v79, 0x3f4a47b2, v86
	v_mul_f32_e32 v80, 0xbf08b237, v91
	;; [unrolled: 1-line block ×4, first 2 shown]
	v_sub_f32_e32 v52, v59, v52
	v_sub_f32_e32 v55, v55, v53
	v_add_f32_e32 v75, v90, v48
	v_add_f32_e32 v63, v49, v63
	v_mul_f32_e32 v81, 0x3f4a47b2, v88
	v_mul_f32_e32 v88, 0x3d64c772, v87
	;; [unrolled: 1-line block ×5, first 2 shown]
	v_add_f32_e32 v48, v82, v67
	v_add_f32_e32 v49, v83, v70
	v_mul_f32_e32 v90, 0xbf5ff5aa, v54
	v_mul_f32_e32 v93, 0x3d64c772, v89
	v_add_f32_e32 v53, v127, v53
	v_add_f32_e32 v59, v50, v59
	v_mul_f32_e32 v127, 0x3f4a47b2, v51
	v_mul_f32_e32 v72, 0xbf08b237, v72
	v_add_f32_e32 v50, v84, v73
	v_add_f32_e32 v51, v85, v58
	v_fma_f32 v84, 0x3f5ff5aa, v56, -v86
	v_fmamk_f32 v85, v94, 0x3eae86e6, v86
	v_fmac_f32_e32 v91, 0xbeae86e6, v94
	v_mul_f32_e32 v129, 0x3d64c772, v68
	v_mul_f32_e32 v130, 0xbf5ff5aa, v55
	;; [unrolled: 1-line block ×3, first 2 shown]
	v_fmamk_f32 v82, v87, 0x3d64c772, v79
	v_fma_f32 v83, 0x3f3bfb3b, v60, -v88
	v_fma_f32 v60, 0xbf3bfb3b, v60, -v79
	;; [unrolled: 1-line block ×3, first 2 shown]
	v_fmamk_f32 v80, v92, 0x3eae86e6, v80
	v_fmamk_f32 v54, v89, 0x3d64c772, v81
	v_fma_f32 v88, 0x3f5ff5aa, v57, -v78
	v_fmamk_f32 v89, v52, 0x3eae86e6, v78
	v_fmac_f32_e32 v131, 0xbeae86e6, v52
	v_fmamk_f32 v52, v95, 0x3d64c772, v69
	v_fma_f32 v57, 0xbf3bfb3b, v74, -v69
	v_fmamk_f32 v67, v67, 0xbf955555, v48
	v_fmamk_f32 v69, v70, 0xbf955555, v49
	v_fmac_f32_e32 v90, 0xbeae86e6, v92
	v_fma_f32 v56, 0x3f3bfb3b, v66, -v93
	v_fma_f32 v66, 0xbf3bfb3b, v66, -v81
	v_fmamk_f32 v68, v68, 0x3d64c772, v127
	v_fmamk_f32 v87, v128, 0x3eae86e6, v72
	v_fmac_f32_e32 v85, 0x3ee1c552, v63
	v_fmac_f32_e32 v84, 0x3ee1c552, v63
	;; [unrolled: 1-line block ×3, first 2 shown]
	v_fmamk_f32 v63, v73, 0xbf955555, v50
	v_fmamk_f32 v58, v58, 0xbf955555, v51
	v_fma_f32 v81, 0x3f3bfb3b, v71, -v129
	v_fma_f32 v71, 0xbf3bfb3b, v71, -v127
	;; [unrolled: 1-line block ×3, first 2 shown]
	v_fmac_f32_e32 v130, 0xbeae86e6, v128
	v_fma_f32 v55, 0x3f3bfb3b, v74, -v132
	v_fmac_f32_e32 v80, 0x3ee1c552, v75
	v_add_f32_e32 v70, v82, v67
	v_add_f32_e32 v72, v54, v69
	v_fmac_f32_e32 v79, 0x3ee1c552, v75
	v_fmac_f32_e32 v90, 0x3ee1c552, v75
	;; [unrolled: 1-line block ×5, first 2 shown]
	v_add_f32_e32 v59, v83, v67
	v_add_f32_e32 v60, v60, v67
	;; [unrolled: 1-line block ×4, first 2 shown]
	v_fmac_f32_e32 v87, 0x3ee1c552, v53
	v_add_f32_e32 v82, v68, v63
	v_add_f32_e32 v83, v52, v58
	v_fmac_f32_e32 v86, 0x3ee1c552, v53
	v_fmac_f32_e32 v130, 0x3ee1c552, v53
	v_add_f32_e32 v78, v81, v63
	v_add_f32_e32 v63, v71, v63
	;; [unrolled: 1-line block ×5, first 2 shown]
	v_sub_f32_e32 v53, v72, v80
	v_add_f32_e32 v54, v91, v60
	v_sub_f32_e32 v55, v67, v90
	v_sub_f32_e32 v56, v59, v84
	v_add_f32_e32 v57, v79, v66
	v_add_f32_e32 v58, v84, v59
	v_sub_f32_e32 v59, v66, v79
	v_sub_f32_e32 v66, v60, v91
	v_add_f32_e32 v67, v90, v67
	v_sub_f32_e32 v68, v70, v85
	v_add_f32_e32 v69, v80, v72
	v_add_f32_e32 v70, v89, v82
	v_sub_f32_e32 v71, v83, v87
	v_add_f32_e32 v72, v131, v63
	v_sub_f32_e32 v73, v81, v130
	v_sub_f32_e32 v74, v78, v88
	v_add_f32_e32 v75, v86, v92
	v_add_f32_e32 v78, v88, v78
	v_sub_f32_e32 v79, v92, v86
	v_sub_f32_e32 v80, v63, v131
	v_add_f32_e32 v81, v130, v81
	v_sub_f32_e32 v82, v82, v89
	v_add_f32_e32 v83, v87, v83
	ds_write2_b64 v168, v[48:49], v[52:53] offset1:28
	ds_write2_b64 v168, v[54:55], v[56:57] offset0:56 offset1:84
	ds_write2_b64 v168, v[58:59], v[66:67] offset0:112 offset1:140
	ds_write_b64 v168, v[68:69] offset:1344
	ds_write2_b64 v167, v[50:51], v[70:71] offset1:28
	ds_write2_b64 v167, v[72:73], v[74:75] offset0:56 offset1:84
	ds_write2_b64 v167, v[78:79], v[80:81] offset0:112 offset1:140
	ds_write_b64 v167, v[82:83] offset:1344
	v_add_co_u32 v66, vcc_lo, 0x1870, v64
	v_add_co_ci_u32_e32 v67, vcc_lo, 0, v65, vcc_lo
	s_waitcnt lgkmcnt(0)
	s_barrier
	buffer_gl0_inv
	s_clause 0x5
	global_load_dwordx4 v[48:51], v[64:65], off offset:1552
	global_load_dwordx4 v[52:55], v[61:62], off offset:112
	;; [unrolled: 1-line block ×6, first 2 shown]
	ds_read2_b64 v[78:81], v147 offset0:68 offset1:166
	ds_read2_b64 v[82:85], v145 offset0:136 offset1:234
	;; [unrolled: 1-line block ×6, first 2 shown]
	ds_read2_b64 v[131:134], v143 offset1:98
	v_add_co_u32 v94, vcc_lo, 0x2800, v76
	v_add_co_ci_u32_e32 v95, vcc_lo, 0, v77, vcc_lo
	v_add_co_u32 v135, vcc_lo, 0x2ae0, v76
	v_add_co_ci_u32_e32 v136, vcc_lo, 0, v77, vcc_lo
	s_waitcnt vmcnt(3) lgkmcnt(4)
	v_mul_f32_e32 v171, v73, v61
	v_mul_f32_e32 v137, v79, v49
	;; [unrolled: 1-line block ×8, first 2 shown]
	s_waitcnt vmcnt(1) lgkmcnt(2)
	v_mul_f32_e32 v179, v91, v69
	v_mul_f32_e32 v180, v90, v69
	s_waitcnt lgkmcnt(1)
	v_mul_f32_e32 v183, v128, v71
	v_mul_f32_e32 v184, v127, v71
	;; [unrolled: 1-line block ×10, first 2 shown]
	s_waitcnt vmcnt(0)
	v_mul_f32_e32 v181, v93, v65
	v_mul_f32_e32 v182, v92, v65
	;; [unrolled: 1-line block ×4, first 2 shown]
	v_fma_f32 v78, v78, v48, -v137
	v_fmac_f32_e32 v138, v79, v48
	v_fma_f32 v79, v80, v52, -v139
	v_fmac_f32_e32 v140, v81, v52
	;; [unrolled: 2-line block ×3, first 2 shown]
	v_fma_f32 v81, v84, v54, -v169
	v_fma_f32 v82, v90, v68, -v179
	v_fmac_f32_e32 v180, v91, v68
	v_fma_f32 v84, v127, v70, -v183
	v_fmac_f32_e32 v184, v128, v70
	v_fmac_f32_e32 v170, v85, v54
	v_fma_f32 v72, v72, v60, -v171
	v_fmac_f32_e32 v172, v73, v60
	v_fma_f32 v73, v74, v56, -v173
	;; [unrolled: 2-line block ×6, first 2 shown]
	v_fmac_f32_e32 v186, v130, v66
	v_add_f32_e32 v86, v78, v84
	v_add_f32_e32 v87, v80, v82
	;; [unrolled: 1-line block ×11, first 2 shown]
	v_sub_f32_e32 v78, v78, v84
	v_sub_f32_e32 v84, v138, v184
	v_sub_f32_e32 v80, v80, v82
	v_sub_f32_e32 v82, v142, v180
	v_sub_f32_e32 v72, v74, v72
	v_sub_f32_e32 v74, v176, v172
	v_sub_f32_e32 v79, v79, v85
	v_sub_f32_e32 v85, v140, v186
	v_sub_f32_e32 v81, v81, v83
	v_sub_f32_e32 v83, v170, v182
	v_sub_f32_e32 v73, v75, v73
	v_sub_f32_e32 v75, v178, v174
	v_add_f32_e32 v137, v87, v86
	v_add_f32_e32 v138, v90, v89
	;; [unrolled: 1-line block ×5, first 2 shown]
	v_sub_f32_e32 v141, v87, v86
	v_sub_f32_e32 v87, v88, v87
	;; [unrolled: 1-line block ×4, first 2 shown]
	v_add_f32_e32 v169, v72, v80
	v_sub_f32_e32 v170, v72, v80
	v_sub_f32_e32 v80, v80, v78
	v_add_f32_e32 v171, v74, v82
	v_sub_f32_e32 v172, v74, v82
	v_sub_f32_e32 v82, v82, v84
	v_sub_f32_e32 v86, v86, v88
	v_sub_f32_e32 v89, v89, v91
	v_sub_f32_e32 v173, v78, v72
	v_sub_f32_e32 v174, v84, v74
	v_sub_f32_e32 v175, v93, v92
	v_add_f32_e32 v72, v73, v81
	v_sub_f32_e32 v74, v92, v127
	v_sub_f32_e32 v92, v73, v81
	v_add_f32_e32 v177, v75, v83
	v_sub_f32_e32 v178, v79, v73
	v_sub_f32_e32 v73, v75, v83
	;; [unrolled: 1-line block ×3, first 2 shown]
	v_add_f32_e32 v88, v88, v137
	v_add_f32_e32 v91, v91, v138
	v_sub_f32_e32 v93, v127, v93
	v_sub_f32_e32 v176, v129, v128
	;; [unrolled: 1-line block ×6, first 2 shown]
	v_add_f32_e32 v127, v127, v139
	v_add_f32_e32 v130, v130, v140
	;; [unrolled: 1-line block ×3, first 2 shown]
	v_mul_f32_e32 v137, 0xbf08b237, v170
	v_mul_f32_e32 v138, 0xbf08b237, v172
	;; [unrolled: 1-line block ×8, first 2 shown]
	v_add_f32_e32 v79, v72, v79
	v_add_f32_e32 v85, v177, v85
	v_mul_f32_e32 v92, 0xbf08b237, v92
	v_mul_f32_e32 v172, 0xbf08b237, v73
	;; [unrolled: 1-line block ×3, first 2 shown]
	s_waitcnt lgkmcnt(0)
	v_add_f32_e32 v72, v131, v88
	v_add_f32_e32 v73, v132, v91
	;; [unrolled: 1-line block ×3, first 2 shown]
	v_mul_f32_e32 v171, 0xbf5ff5aa, v81
	v_mul_f32_e32 v180, 0x3d64c772, v93
	;; [unrolled: 1-line block ×5, first 2 shown]
	v_add_f32_e32 v74, v133, v127
	v_add_f32_e32 v75, v134, v130
	v_fma_f32 v131, 0x3f3bfb3b, v141, -v139
	v_fma_f32 v132, 0x3f3bfb3b, v142, -v140
	v_fma_f32 v133, 0x3f5ff5aa, v80, -v137
	v_fma_f32 v80, 0x3f5ff5aa, v82, -v138
	v_fmac_f32_e32 v169, 0xbeae86e6, v173
	v_fmac_f32_e32 v170, 0xbeae86e6, v174
	v_fma_f32 v82, 0xbf3bfb3b, v141, -v86
	v_fma_f32 v134, 0xbf3bfb3b, v142, -v89
	v_fmamk_f32 v137, v173, 0x3eae86e6, v137
	v_fmamk_f32 v138, v174, 0x3eae86e6, v138
	;; [unrolled: 1-line block ×4, first 2 shown]
	v_fma_f32 v139, 0x3f5ff5aa, v81, -v92
	v_fmamk_f32 v140, v178, 0x3eae86e6, v92
	v_fma_f32 v92, 0x3f5ff5aa, v83, -v172
	v_fmac_f32_e32 v177, 0xbeae86e6, v179
	v_fmamk_f32 v141, v179, 0x3eae86e6, v172
	v_fmamk_f32 v88, v88, 0xbf955555, v72
	;; [unrolled: 1-line block ×3, first 2 shown]
	v_fmac_f32_e32 v171, 0xbeae86e6, v178
	v_fma_f32 v81, 0x3f3bfb3b, v175, -v180
	v_fma_f32 v83, 0xbf3bfb3b, v175, -v181
	v_fmamk_f32 v89, v93, 0x3d64c772, v181
	v_fma_f32 v90, 0x3f3bfb3b, v176, -v182
	v_fma_f32 v93, 0xbf3bfb3b, v176, -v128
	v_fmamk_f32 v128, v129, 0x3d64c772, v128
	v_fmac_f32_e32 v133, 0x3ee1c552, v78
	v_fmac_f32_e32 v80, 0x3ee1c552, v84
	;; [unrolled: 1-line block ×6, first 2 shown]
	v_fmamk_f32 v78, v127, 0xbf955555, v74
	v_fmamk_f32 v84, v130, 0xbf955555, v75
	v_fmac_f32_e32 v92, 0x3ee1c552, v85
	v_fmac_f32_e32 v177, 0x3ee1c552, v85
	;; [unrolled: 1-line block ×3, first 2 shown]
	v_add_f32_e32 v85, v131, v88
	v_add_f32_e32 v127, v132, v91
	;; [unrolled: 1-line block ×6, first 2 shown]
	v_fmac_f32_e32 v139, 0x3ee1c552, v79
	v_fmac_f32_e32 v171, 0x3ee1c552, v79
	v_fmac_f32_e32 v140, 0x3ee1c552, v79
	v_add_f32_e32 v131, v81, v78
	v_add_f32_e32 v132, v90, v84
	;; [unrolled: 1-line block ×7, first 2 shown]
	v_sub_f32_e32 v87, v91, v137
	v_add_f32_e32 v82, v170, v129
	v_sub_f32_e32 v83, v130, v169
	v_sub_f32_e32 v78, v85, v80
	v_add_f32_e32 v79, v133, v127
	v_add_f32_e32 v80, v80, v85
	v_sub_f32_e32 v81, v127, v133
	v_sub_f32_e32 v84, v129, v170
	v_add_f32_e32 v85, v169, v130
	v_sub_f32_e32 v88, v88, v138
	v_add_f32_e32 v89, v137, v91
	;; [unrolled: 2-line block ×3, first 2 shown]
	v_add_f32_e32 v92, v92, v131
	v_sub_f32_e32 v93, v132, v139
	v_add_f32_e32 v127, v177, v134
	v_sub_f32_e32 v128, v142, v171
	v_sub_f32_e32 v129, v134, v177
	v_add_f32_e32 v130, v171, v142
	v_add_f32_e32 v131, v141, v172
	v_sub_f32_e32 v132, v173, v140
	v_sub_f32_e32 v133, v172, v141
	v_add_f32_e32 v134, v140, v173
	ds_write_b64 v143, v[86:87] offset:1568
	ds_write_b64 v143, v[82:83] offset:3136
	;; [unrolled: 1-line block ×6, first 2 shown]
	ds_write2_b64 v143, v[72:73], v[74:75] offset1:98
	ds_write_b64 v143, v[131:132] offset:2352
	ds_write_b64 v143, v[127:128] offset:3920
	ds_write_b64 v143, v[90:91] offset:5488
	ds_write_b64 v143, v[92:93] offset:7056
	ds_write_b64 v143, v[129:130] offset:8624
	ds_write_b64 v143, v[133:134] offset:10192
	v_add_co_u32 v72, vcc_lo, 0x4000, v76
	v_add_co_ci_u32_e32 v73, vcc_lo, 0, v77, vcc_lo
	s_waitcnt lgkmcnt(0)
	s_barrier
	buffer_gl0_inv
	s_clause 0x2
	global_load_dwordx2 v[84:85], v[94:95], off offset:736
	global_load_dwordx2 v[88:89], v[135:136], off offset:784
	;; [unrolled: 1-line block ×3, first 2 shown]
	v_add_co_u32 v74, vcc_lo, 0x3000, v76
	v_add_co_ci_u32_e32 v75, vcc_lo, 0, v77, vcc_lo
	s_clause 0x2
	global_load_dwordx2 v[90:91], v[72:73], off offset:1648
	global_load_dwordx2 v[92:93], v[72:73], off offset:80
	;; [unrolled: 1-line block ×3, first 2 shown]
	v_add_co_u32 v72, vcc_lo, 0x4800, v76
	v_add_co_ci_u32_e32 v73, vcc_lo, 0, v77, vcc_lo
	v_add_co_u32 v78, vcc_lo, 0x3800, v76
	v_add_co_ci_u32_e32 v79, vcc_lo, 0, v77, vcc_lo
	s_clause 0x5
	global_load_dwordx2 v[133:134], v[74:75], off offset:1040
	global_load_dwordx2 v[131:132], v[72:73], off offset:384
	;; [unrolled: 1-line block ×6, first 2 shown]
	v_add_co_u32 v74, vcc_lo, 0x5000, v76
	v_add_co_ci_u32_e32 v75, vcc_lo, 0, v77, vcc_lo
	s_clause 0x1
	global_load_dwordx2 v[141:142], v[72:73], off offset:1952
	global_load_dwordx2 v[139:140], v[74:75], off offset:688
	ds_read2_b64 v[80:83], v143 offset1:98
	ds_read2_b64 v[76:79], v148 offset0:16 offset1:114
	ds_read2_b64 v[72:75], v147 offset0:68 offset1:166
	;; [unrolled: 1-line block ×5, first 2 shown]
	s_waitcnt vmcnt(13) lgkmcnt(5)
	v_mul_f32_e32 v181, v81, v85
	v_mul_f32_e32 v182, v80, v85
	s_waitcnt vmcnt(12)
	v_mul_f32_e32 v183, v83, v89
	v_mul_f32_e32 v85, v82, v89
	s_waitcnt vmcnt(10) lgkmcnt(4)
	v_mul_f32_e32 v184, v78, v91
	v_fma_f32 v181, v80, v84, -v181
	v_fmac_f32_e32 v182, v81, v84
	v_fma_f32 v84, v82, v88, -v183
	v_fmac_f32_e32 v85, v83, v88
	ds_read2_b64 v[80:83], v144 offset0:152 offset1:250
	v_mul_f32_e32 v88, v76, v87
	v_mul_f32_e32 v183, v79, v91
	;; [unrolled: 1-line block ×3, first 2 shown]
	v_fmac_f32_e32 v184, v79, v90
	s_waitcnt vmcnt(7) lgkmcnt(4)
	v_mul_f32_e32 v79, v74, v134
	v_fmac_f32_e32 v88, v77, v86
	v_mul_f32_e32 v77, v72, v136
	v_fma_f32 v183, v78, v90, -v183
	v_mul_f32_e32 v78, v75, v134
	v_fma_f32 v87, v76, v86, -v89
	v_mul_f32_e32 v76, v73, v136
	s_waitcnt vmcnt(6) lgkmcnt(3)
	v_mul_f32_e32 v86, v170, v132
	v_mul_f32_e32 v90, v169, v132
	s_waitcnt vmcnt(5)
	v_mul_f32_e32 v91, v172, v130
	v_fmac_f32_e32 v77, v73, v135
	v_mul_f32_e32 v73, v171, v130
	s_waitcnt vmcnt(4) lgkmcnt(2)
	v_mul_f32_e32 v134, v174, v128
	v_fma_f32 v78, v74, v133, -v78
	v_fmac_f32_e32 v79, v75, v133
	v_mul_f32_e32 v75, v173, v128
	s_waitcnt vmcnt(3)
	v_mul_f32_e32 v133, v176, v95
	v_mul_f32_e32 v128, v175, v95
	v_fma_f32 v76, v72, v135, -v76
	s_waitcnt lgkmcnt(1)
	v_mul_f32_e32 v135, v180, v93
	v_fma_f32 v89, v169, v131, -v86
	v_mul_f32_e32 v95, v179, v93
	v_fmac_f32_e32 v90, v170, v131
	s_waitcnt vmcnt(2)
	v_mul_f32_e32 v86, v178, v138
	v_fma_f32 v72, v171, v129, -v91
	v_mul_f32_e32 v93, v177, v138
	s_waitcnt vmcnt(1) lgkmcnt(0)
	v_mul_f32_e32 v91, v81, v142
	v_mul_f32_e32 v130, v80, v142
	s_waitcnt vmcnt(0)
	v_mul_f32_e32 v131, v83, v140
	v_mul_f32_e32 v132, v82, v140
	v_fmac_f32_e32 v73, v172, v129
	v_fma_f32 v74, v173, v127, -v134
	v_fmac_f32_e32 v75, v174, v127
	v_fma_f32 v127, v175, v94, -v133
	v_fmac_f32_e32 v128, v176, v94
	v_fma_f32 v94, v179, v92, -v135
	v_fmac_f32_e32 v95, v180, v92
	v_fma_f32 v92, v177, v137, -v86
	v_fmac_f32_e32 v93, v178, v137
	v_fma_f32 v129, v80, v141, -v91
	v_fmac_f32_e32 v130, v81, v141
	v_fma_f32 v131, v82, v139, -v131
	v_fmac_f32_e32 v132, v83, v139
	ds_write2_b64 v143, v[181:182], v[84:85] offset1:98
	ds_write2_b64 v148, v[87:88], v[183:184] offset0:16 offset1:114
	ds_write2_b64 v147, v[76:77], v[78:79] offset0:68 offset1:166
	ds_write2_b64 v146, v[89:90], v[72:73] offset0:84 offset1:182
	ds_write2_b64 v145, v[74:75], v[127:128] offset0:136 offset1:234
	ds_write2_b64 v149, v[92:93], v[94:95] offset0:76 offset1:174
	ds_write2_b64 v144, v[129:130], v[131:132] offset0:152 offset1:250
	s_waitcnt lgkmcnt(0)
	s_barrier
	buffer_gl0_inv
	ds_read2_b64 v[80:83], v143 offset1:98
	ds_read2_b64 v[72:75], v149 offset0:76 offset1:174
	ds_read2_b64 v[92:95], v148 offset0:16 offset1:114
	;; [unrolled: 1-line block ×6, first 2 shown]
	v_mad_u64_u32 v[129:130], null, s2, v124, 0
	v_mad_u64_u32 v[127:128], null, s0, v150, 0
	s_waitcnt lgkmcnt(0)
	s_barrier
	buffer_gl0_inv
	s_mul_i32 s2, s0, 0x1570
	v_sub_f32_e32 v135, v80, v74
	v_sub_f32_e32 v136, v81, v75
	;; [unrolled: 1-line block ×14, first 2 shown]
	v_fma_f32 v133, v80, 2.0, -v135
	v_fma_f32 v134, v81, 2.0, -v136
	;; [unrolled: 1-line block ×8, first 2 shown]
	v_mad_u64_u32 v[141:142], null, s3, v124, v[130:131]
	v_fma_f32 v169, v76, 2.0, -v171
	v_fma_f32 v170, v77, 2.0, -v172
	;; [unrolled: 1-line block ×6, first 2 shown]
	ds_write_b128 v151, v[133:136]
	ds_write_b128 v152, v[90:93]
	;; [unrolled: 1-line block ×7, first 2 shown]
	s_waitcnt lgkmcnt(0)
	s_barrier
	buffer_gl0_inv
	ds_read2_b64 v[72:75], v148 offset0:16 offset1:114
	ds_read2_b64 v[84:87], v149 offset0:76 offset1:174
	;; [unrolled: 1-line block ×3, first 2 shown]
	v_mad_u64_u32 v[88:89], null, s1, v150, v[128:129]
	ds_read2_b64 v[80:83], v144 offset0:152 offset1:250
	v_mov_b32_e32 v130, v141
	s_mul_i32 s3, s1, 0xffffeda0
	s_mul_i32 s1, s0, 0xffffeda0
	s_add_i32 s0, s10, s9
	s_add_i32 s3, s8, s3
	v_mov_b32_e32 v128, v88
	v_lshlrev_b64 v[133:134], 3, v[129:130]
	ds_read2_b64 v[88:91], v143 offset1:98
	ds_read2_b64 v[92:95], v147 offset0:68 offset1:166
	ds_read2_b64 v[129:132], v145 offset0:136 offset1:234
	s_waitcnt lgkmcnt(0)
	s_barrier
	buffer_gl0_inv
	v_mul_f32_e32 v135, v126, v72
	v_mul_f32_e32 v152, v126, v87
	v_mul_f32_e32 v153, v126, v86
	v_mul_f32_e32 v124, v126, v73
	v_mul_f32_e32 v136, v126, v75
	v_mul_f32_e32 v137, v126, v74
	v_mul_f32_e32 v138, v126, v77
	v_mul_f32_e32 v139, v126, v76
	v_mul_f32_e32 v140, v126, v79
	v_mul_f32_e32 v141, v126, v78
	v_mul_f32_e32 v142, v126, v81
	v_mul_f32_e32 v150, v126, v80
	v_mul_f32_e32 v151, v126, v83
	v_mul_f32_e32 v126, v126, v82
	v_fma_f32 v135, v125, v73, -v135
	v_fmac_f32_e32 v152, v125, v86
	v_fma_f32 v73, v125, v87, -v153
	v_fmac_f32_e32 v124, v125, v72
	v_fmac_f32_e32 v136, v125, v74
	v_fma_f32 v137, v125, v75, -v137
	v_fmac_f32_e32 v138, v125, v76
	v_fma_f32 v139, v125, v77, -v139
	;; [unrolled: 2-line block ×5, first 2 shown]
	v_sub_f32_e32 v72, v88, v152
	v_sub_f32_e32 v73, v89, v73
	;; [unrolled: 1-line block ×14, first 2 shown]
	v_fma_f32 v88, v88, 2.0, -v72
	v_fma_f32 v89, v89, 2.0, -v73
	;; [unrolled: 1-line block ×14, first 2 shown]
	ds_write2_b64 v158, v[88:89], v[72:73] offset1:2
	ds_write2_b64 v159, v[90:91], v[74:75] offset1:2
	;; [unrolled: 1-line block ×7, first 2 shown]
	v_lshlrev_b64 v[72:73], 3, v[127:128]
	v_add_co_u32 v90, vcc_lo, s6, v133
	v_add_co_ci_u32_e32 v91, vcc_lo, s7, v134, vcc_lo
	s_waitcnt lgkmcnt(0)
	v_add_co_u32 v72, vcc_lo, v90, v72
	s_barrier
	buffer_gl0_inv
	ds_read2_b64 v[74:77], v147 offset0:68 offset1:166
	ds_read2_b64 v[78:81], v145 offset0:136 offset1:234
	;; [unrolled: 1-line block ×4, first 2 shown]
	v_add_co_ci_u32_e32 v73, vcc_lo, v91, v73, vcc_lo
	ds_read2_b64 v[90:93], v146 offset0:84 offset1:182
	ds_read2_b64 v[124:127], v144 offset0:152 offset1:250
	ds_read2_b64 v[128:131], v143 offset1:98
	s_waitcnt lgkmcnt(0)
	s_barrier
	buffer_gl0_inv
	v_mul_f32_e32 v94, v21, v75
	v_mul_f32_e32 v21, v21, v74
	;; [unrolled: 1-line block ×24, first 2 shown]
	v_fmac_f32_e32 v94, v20, v74
	v_fma_f32 v20, v20, v75, -v21
	v_fmac_f32_e32 v95, v22, v78
	v_fma_f32 v21, v22, v79, -v23
	v_fmac_f32_e32 v138, v4, v90
	v_fma_f32 v4, v4, v91, -v5
	v_fmac_f32_e32 v139, v6, v124
	v_fma_f32 v5, v6, v125, -v7
	v_fmac_f32_e32 v132, v16, v76
	v_fma_f32 v16, v16, v77, -v17
	v_fmac_f32_e32 v133, v18, v80
	v_fma_f32 v17, v18, v81, -v19
	v_fmac_f32_e32 v134, v12, v82
	v_fma_f32 v12, v12, v83, -v13
	v_fmac_f32_e32 v135, v14, v86
	v_fma_f32 v13, v14, v87, -v15
	v_fmac_f32_e32 v140, v0, v92
	v_fma_f32 v0, v0, v93, -v1
	v_fmac_f32_e32 v141, v2, v126
	v_fma_f32 v1, v2, v127, -v3
	v_fmac_f32_e32 v136, v8, v84
	v_fma_f32 v8, v8, v85, -v9
	v_fmac_f32_e32 v137, v10, v88
	v_fma_f32 v9, v10, v89, -v11
	v_add_f32_e32 v2, v94, v139
	v_add_f32_e32 v3, v95, v138
	;; [unrolled: 1-line block ×9, first 2 shown]
	v_sub_f32_e32 v5, v20, v5
	v_sub_f32_e32 v20, v95, v138
	;; [unrolled: 1-line block ×5, first 2 shown]
	v_add_f32_e32 v6, v134, v135
	v_add_f32_e32 v18, v136, v137
	;; [unrolled: 1-line block ×3, first 2 shown]
	v_sub_f32_e32 v74, v94, v139
	v_sub_f32_e32 v1, v16, v1
	;; [unrolled: 1-line block ×6, first 2 shown]
	v_add_f32_e32 v9, v3, v2
	v_add_f32_e32 v75, v10, v7
	v_sub_f32_e32 v13, v132, v141
	v_add_f32_e32 v76, v15, v14
	v_add_f32_e32 v77, v22, v19
	;; [unrolled: 1-line block ×3, first 2 shown]
	v_sub_f32_e32 v83, v21, v20
	v_add_f32_e32 v84, v12, v4
	v_sub_f32_e32 v85, v12, v4
	v_sub_f32_e32 v4, v4, v5
	;; [unrolled: 1-line block ×15, first 2 shown]
	v_add_f32_e32 v22, v17, v16
	v_add_f32_e32 v88, v8, v0
	v_sub_f32_e32 v89, v8, v0
	v_sub_f32_e32 v90, v0, v1
	v_add_f32_e32 v6, v6, v9
	v_add_f32_e32 v9, v11, v75
	v_sub_f32_e32 v87, v17, v16
	v_sub_f32_e32 v16, v16, v13
	;; [unrolled: 1-line block ×4, first 2 shown]
	v_add_f32_e32 v11, v18, v76
	v_add_f32_e32 v18, v23, v77
	;; [unrolled: 1-line block ×3, first 2 shown]
	v_mul_f32_e32 v75, 0x3f08b237, v83
	v_mul_f32_e32 v77, 0x3f08b237, v85
	;; [unrolled: 1-line block ×3, first 2 shown]
	v_sub_f32_e32 v17, v13, v17
	v_sub_f32_e32 v8, v1, v8
	v_add_f32_e32 v5, v84, v5
	v_mul_f32_e32 v74, 0x3f4a47b2, v78
	v_mul_f32_e32 v76, 0x3f4a47b2, v80
	v_add_f32_e32 v13, v22, v13
	v_add_f32_e32 v22, v88, v1
	v_mul_f32_e32 v84, 0x3f4a47b2, v2
	v_mul_f32_e32 v85, 0x3d64c772, v14
	;; [unrolled: 1-line block ×4, first 2 shown]
	v_add_f32_e32 v0, v128, v6
	v_add_f32_e32 v1, v129, v9
	v_mul_f32_e32 v78, 0x3d64c772, v79
	v_mul_f32_e32 v80, 0x3f5ff5aa, v10
	;; [unrolled: 1-line block ×6, first 2 shown]
	v_add_f32_e32 v2, v130, v11
	v_add_f32_e32 v3, v131, v18
	v_fmamk_f32 v94, v21, 0xbeae86e6, v75
	v_fmamk_f32 v95, v12, 0xbeae86e6, v77
	v_fma_f32 v75, 0xbf5ff5aa, v10, -v75
	v_fma_f32 v10, 0xbf5ff5aa, v4, -v77
	v_fmac_f32_e32 v82, 0x3eae86e6, v12
	v_mul_f32_e32 v91, 0x3d64c772, v19
	v_fmamk_f32 v79, v79, 0x3d64c772, v74
	v_fmamk_f32 v81, v81, 0x3d64c772, v76
	;; [unrolled: 1-line block ×3, first 2 shown]
	v_fma_f32 v14, 0x3f3bfb3b, v20, -v85
	v_fma_f32 v20, 0xbf3bfb3b, v20, -v84
	v_fmamk_f32 v84, v8, 0xbeae86e6, v89
	v_fmac_f32_e32 v93, 0x3eae86e6, v8
	v_fmamk_f32 v6, v6, 0xbf955555, v0
	v_fmamk_f32 v8, v9, 0xbf955555, v1
	v_fma_f32 v78, 0x3f3bfb3b, v86, -v78
	v_fma_f32 v74, 0xbf3bfb3b, v86, -v74
	v_fmac_f32_e32 v80, 0x3eae86e6, v21
	v_fma_f32 v4, 0x3f3bfb3b, v7, -v83
	v_fma_f32 v7, 0xbf3bfb3b, v7, -v76
	;; [unrolled: 1-line block ×3, first 2 shown]
	v_fmamk_f32 v77, v17, 0xbeae86e6, v87
	v_fmac_f32_e32 v92, 0x3eae86e6, v17
	v_fma_f32 v83, 0xbf5ff5aa, v90, -v89
	v_fmamk_f32 v19, v19, 0x3d64c772, v88
	v_fmac_f32_e32 v95, 0xbee1c552, v5
	v_fmac_f32_e32 v10, 0xbee1c552, v5
	;; [unrolled: 1-line block ×3, first 2 shown]
	v_fmamk_f32 v5, v11, 0xbf955555, v2
	v_fmamk_f32 v9, v18, 0xbf955555, v3
	v_fma_f32 v21, 0x3f3bfb3b, v15, -v91
	v_fma_f32 v15, 0xbf3bfb3b, v15, -v88
	v_fmac_f32_e32 v94, 0xbee1c552, v23
	v_add_f32_e32 v16, v79, v6
	v_add_f32_e32 v17, v81, v8
	v_fmac_f32_e32 v75, 0xbee1c552, v23
	v_fmac_f32_e32 v80, 0xbee1c552, v23
	;; [unrolled: 1-line block ×8, first 2 shown]
	v_add_f32_e32 v11, v78, v6
	v_add_f32_e32 v13, v74, v6
	v_add_f32_e32 v18, v7, v8
	v_add_f32_e32 v22, v4, v8
	v_add_f32_e32 v78, v12, v5
	v_add_f32_e32 v74, v20, v5
	v_add_f32_e32 v79, v19, v9
	v_add_f32_e32 v23, v14, v5
	v_add_f32_e32 v19, v21, v9
	v_add_f32_e32 v81, v15, v9
	v_add_f32_e32 v4, v95, v16
	v_sub_f32_e32 v5, v17, v94
	v_add_f32_e32 v6, v82, v13
	v_sub_f32_e32 v7, v18, v80
	v_sub_f32_e32 v8, v11, v10
	v_add_f32_e32 v9, v75, v22
	v_add_f32_e32 v10, v10, v11
	v_sub_f32_e32 v11, v22, v75
	v_sub_f32_e32 v12, v13, v82
	v_add_f32_e32 v13, v80, v18
	v_sub_f32_e32 v14, v16, v95
	v_add_f32_e32 v15, v94, v17
	v_add_f32_e32 v20, v93, v74
	v_sub_f32_e32 v22, v74, v93
	v_add_f32_e32 v74, v84, v78
	v_sub_f32_e32 v75, v79, v77
	v_sub_f32_e32 v16, v23, v83
	v_add_f32_e32 v17, v76, v19
	v_add_f32_e32 v18, v83, v23
	v_sub_f32_e32 v19, v19, v76
	v_sub_f32_e32 v21, v81, v92
	v_add_f32_e32 v23, v92, v81
	v_sub_f32_e32 v76, v78, v84
	v_add_f32_e32 v77, v77, v79
	ds_write2_b64 v165, v[0:1], v[4:5] offset1:4
	ds_write2_b64 v165, v[6:7], v[8:9] offset0:8 offset1:12
	ds_write2_b64 v165, v[10:11], v[12:13] offset0:16 offset1:20
	ds_write_b64 v165, v[14:15] offset:192
	ds_write2_b64 v166, v[2:3], v[74:75] offset1:4
	ds_write2_b64 v166, v[20:21], v[16:17] offset0:8 offset1:12
	ds_write2_b64 v166, v[18:19], v[22:23] offset0:16 offset1:20
	ds_write_b64 v166, v[76:77] offset:192
	s_waitcnt lgkmcnt(0)
	s_barrier
	buffer_gl0_inv
	ds_read2_b64 v[6:9], v147 offset0:68 offset1:166
	ds_read2_b64 v[10:13], v145 offset0:136 offset1:234
	;; [unrolled: 1-line block ×6, first 2 shown]
	ds_read2_b64 v[82:85], v143 offset1:98
	s_waitcnt lgkmcnt(0)
	s_barrier
	buffer_gl0_inv
	v_add_co_u32 v0, vcc_lo, v72, s2
	v_add_co_ci_u32_e32 v1, vcc_lo, s0, v73, vcc_lo
	v_add_co_u32 v2, vcc_lo, v0, s1
	v_add_co_ci_u32_e32 v3, vcc_lo, s3, v1, vcc_lo
	;; [unrolled: 2-line block ×3, first 2 shown]
	v_mul_f32_e32 v22, v29, v7
	v_mul_f32_e32 v23, v29, v6
	;; [unrolled: 1-line block ×24, first 2 shown]
	v_fmac_f32_e32 v22, v28, v6
	v_fma_f32 v6, v28, v7, -v23
	v_fmac_f32_e32 v29, v30, v10
	v_fma_f32 v7, v30, v11, -v31
	;; [unrolled: 2-line block ×7, first 2 shown]
	v_fma_f32 v11, v34, v19, -v35
	v_fmac_f32_e32 v90, v36, v16
	v_fma_f32 v12, v36, v17, -v37
	v_fmac_f32_e32 v94, v44, v76
	v_fma_f32 v16, v44, v77, -v45
	v_fmac_f32_e32 v95, v46, v80
	v_fma_f32 v17, v46, v81, -v47
	v_fmac_f32_e32 v89, v34, v18
	v_fmac_f32_e32 v91, v38, v20
	v_fma_f32 v13, v38, v21, -v39
	v_add_f32_e32 v18, v22, v93
	v_add_f32_e32 v19, v6, v15
	v_sub_f32_e32 v6, v6, v15
	v_add_f32_e32 v15, v29, v92
	v_add_f32_e32 v21, v7, v14
	;; [unrolled: 1-line block ×3, first 2 shown]
	v_sub_f32_e32 v10, v11, v10
	v_add_f32_e32 v11, v86, v95
	v_add_f32_e32 v25, v8, v17
	v_sub_f32_e32 v8, v8, v17
	v_add_f32_e32 v17, v87, v94
	v_add_f32_e32 v27, v9, v16
	v_sub_f32_e32 v20, v22, v93
	v_sub_f32_e32 v22, v29, v92
	;; [unrolled: 1-line block ×3, first 2 shown]
	v_add_f32_e32 v14, v88, v89
	v_sub_f32_e32 v24, v89, v88
	v_sub_f32_e32 v28, v87, v94
	;; [unrolled: 1-line block ×3, first 2 shown]
	v_add_f32_e32 v16, v90, v91
	v_add_f32_e32 v29, v12, v13
	v_sub_f32_e32 v30, v91, v90
	v_sub_f32_e32 v12, v13, v12
	v_add_f32_e32 v13, v15, v18
	v_add_f32_e32 v31, v21, v19
	v_sub_f32_e32 v26, v86, v95
	v_add_f32_e32 v35, v17, v11
	v_add_f32_e32 v36, v27, v25
	v_sub_f32_e32 v32, v15, v18
	v_sub_f32_e32 v33, v21, v19
	;; [unrolled: 1-line block ×6, first 2 shown]
	v_add_f32_e32 v34, v24, v22
	v_add_f32_e32 v37, v10, v7
	v_sub_f32_e32 v38, v24, v22
	v_sub_f32_e32 v39, v10, v7
	;; [unrolled: 1-line block ×10, first 2 shown]
	v_add_f32_e32 v27, v30, v28
	v_add_f32_e32 v43, v12, v9
	v_sub_f32_e32 v45, v12, v9
	v_sub_f32_e32 v46, v9, v8
	v_add_f32_e32 v13, v14, v13
	v_add_f32_e32 v14, v23, v31
	v_sub_f32_e32 v44, v30, v28
	v_sub_f32_e32 v28, v28, v26
	;; [unrolled: 4-line block ×3, first 2 shown]
	v_sub_f32_e32 v30, v26, v30
	v_sub_f32_e32 v12, v8, v12
	v_add_f32_e32 v20, v34, v20
	v_add_f32_e32 v29, v37, v6
	v_mul_f32_e32 v18, 0x3f4a47b2, v18
	v_mul_f32_e32 v19, 0x3f4a47b2, v19
	v_mul_f32_e32 v31, 0x3d64c772, v15
	v_add_f32_e32 v26, v27, v26
	v_mul_f32_e32 v27, 0x3d64c772, v21
	v_mul_f32_e32 v34, 0x3f08b237, v38
	v_mul_f32_e32 v35, 0x3f08b237, v39
	;; [unrolled: 4-line block ×3, first 2 shown]
	v_mul_f32_e32 v43, 0x3d64c772, v17
	v_mul_f32_e32 v45, 0x3f08b237, v45
	;; [unrolled: 1-line block ×3, first 2 shown]
	v_add_f32_e32 v6, v82, v13
	v_add_f32_e32 v7, v83, v14
	v_mul_f32_e32 v44, 0x3f08b237, v44
	v_mul_f32_e32 v74, 0x3f5ff5aa, v28
	;; [unrolled: 1-line block ×4, first 2 shown]
	v_add_f32_e32 v8, v84, v16
	v_add_f32_e32 v9, v85, v23
	v_fmamk_f32 v15, v15, 0x3d64c772, v18
	v_fma_f32 v31, 0x3f3bfb3b, v32, -v31
	v_fma_f32 v18, 0xbf3bfb3b, v32, -v18
	v_fmamk_f32 v21, v21, 0x3d64c772, v19
	v_fma_f32 v27, 0x3f3bfb3b, v33, -v27
	v_fma_f32 v19, 0xbf3bfb3b, v33, -v19
	;; [unrolled: 1-line block ×3, first 2 shown]
	v_fmamk_f32 v32, v24, 0xbeae86e6, v34
	v_fmac_f32_e32 v37, 0x3eae86e6, v24
	v_fmamk_f32 v33, v10, 0xbeae86e6, v35
	v_fmac_f32_e32 v38, 0x3eae86e6, v10
	v_fmamk_f32 v10, v17, 0x3d64c772, v39
	v_fma_f32 v17, 0x3f3bfb3b, v41, -v43
	v_fma_f32 v34, 0xbf3bfb3b, v41, -v39
	v_fmamk_f32 v41, v12, 0xbeae86e6, v45
	v_fmac_f32_e32 v75, 0x3eae86e6, v12
	v_fmamk_f32 v12, v13, 0xbf955555, v6
	v_fmamk_f32 v13, v14, 0xbf955555, v7
	v_fma_f32 v24, 0xbf5ff5aa, v40, -v35
	v_fma_f32 v39, 0xbf5ff5aa, v28, -v44
	v_fmamk_f32 v40, v30, 0xbeae86e6, v44
	v_fmac_f32_e32 v74, 0x3eae86e6, v30
	v_fmamk_f32 v25, v25, 0x3d64c772, v11
	v_fma_f32 v35, 0x3f3bfb3b, v42, -v47
	v_fma_f32 v11, 0xbf3bfb3b, v42, -v11
	;; [unrolled: 1-line block ×3, first 2 shown]
	v_fmamk_f32 v14, v16, 0xbf955555, v8
	v_fmamk_f32 v16, v23, 0xbf955555, v9
	v_fmac_f32_e32 v32, 0xbee1c552, v20
	v_fmac_f32_e32 v33, 0xbee1c552, v29
	;; [unrolled: 1-line block ×4, first 2 shown]
	v_add_f32_e32 v20, v15, v12
	v_add_f32_e32 v21, v21, v13
	v_fmac_f32_e32 v24, 0xbee1c552, v29
	v_fmac_f32_e32 v38, 0xbee1c552, v29
	;; [unrolled: 1-line block ×5, first 2 shown]
	v_add_f32_e32 v23, v31, v12
	v_add_f32_e32 v26, v27, v13
	;; [unrolled: 1-line block ×4, first 2 shown]
	v_fmac_f32_e32 v41, 0xbee1c552, v36
	v_fmac_f32_e32 v28, 0xbee1c552, v36
	;; [unrolled: 1-line block ×3, first 2 shown]
	v_add_f32_e32 v36, v10, v14
	v_add_f32_e32 v42, v25, v16
	;; [unrolled: 1-line block ×7, first 2 shown]
	v_sub_f32_e32 v11, v21, v32
	v_add_f32_e32 v12, v38, v18
	v_sub_f32_e32 v13, v19, v37
	v_sub_f32_e32 v14, v23, v24
	v_add_f32_e32 v15, v22, v26
	v_add_f32_e32 v16, v24, v23
	v_sub_f32_e32 v17, v26, v22
	v_sub_f32_e32 v18, v18, v38
	v_add_f32_e32 v19, v37, v19
	v_sub_f32_e32 v20, v20, v33
	v_add_f32_e32 v21, v32, v21
	v_add_f32_e32 v22, v41, v36
	v_sub_f32_e32 v23, v42, v40
	v_add_f32_e32 v24, v75, v31
	v_sub_f32_e32 v25, v34, v74
	v_sub_f32_e32 v26, v29, v28
	v_add_f32_e32 v27, v39, v30
	v_add_f32_e32 v28, v28, v29
	v_sub_f32_e32 v29, v30, v39
	v_sub_f32_e32 v30, v31, v75
	v_add_f32_e32 v31, v74, v34
	v_sub_f32_e32 v32, v36, v41
	v_add_f32_e32 v33, v40, v42
	ds_write2_b64 v168, v[6:7], v[10:11] offset1:28
	ds_write2_b64 v168, v[12:13], v[14:15] offset0:56 offset1:84
	ds_write2_b64 v168, v[16:17], v[18:19] offset0:112 offset1:140
	ds_write_b64 v168, v[20:21] offset:1344
	ds_write2_b64 v167, v[8:9], v[22:23] offset1:28
	ds_write2_b64 v167, v[24:25], v[26:27] offset0:56 offset1:84
	ds_write2_b64 v167, v[28:29], v[30:31] offset0:112 offset1:140
	ds_write_b64 v167, v[32:33] offset:1344
	s_waitcnt lgkmcnt(0)
	s_barrier
	buffer_gl0_inv
	ds_read2_b64 v[14:17], v147 offset0:68 offset1:166
	ds_read2_b64 v[18:21], v145 offset0:136 offset1:234
	;; [unrolled: 1-line block ×6, first 2 shown]
	ds_read2_b64 v[38:41], v143 offset1:98
	v_add_co_u32 v6, vcc_lo, v4, s1
	v_add_co_ci_u32_e32 v7, vcc_lo, s3, v5, vcc_lo
	v_add_co_u32 v8, vcc_lo, v6, s2
	v_add_co_ci_u32_e32 v9, vcc_lo, s0, v7, vcc_lo
	;; [unrolled: 2-line block ×3, first 2 shown]
	s_waitcnt lgkmcnt(6)
	v_mul_f32_e32 v42, v49, v15
	v_mul_f32_e32 v43, v49, v14
	s_waitcnt lgkmcnt(5)
	v_mul_f32_e32 v44, v51, v19
	v_mul_f32_e32 v45, v51, v18
	;; [unrolled: 1-line block ×6, first 2 shown]
	s_waitcnt lgkmcnt(2)
	v_mul_f32_e32 v74, v69, v31
	v_mul_f32_e32 v69, v69, v30
	s_waitcnt lgkmcnt(1)
	v_mul_f32_e32 v75, v71, v35
	v_mul_f32_e32 v71, v71, v34
	;; [unrolled: 1-line block ×14, first 2 shown]
	v_fmac_f32_e32 v42, v48, v14
	v_fma_f32 v14, v48, v15, -v43
	v_fmac_f32_e32 v44, v50, v18
	v_fma_f32 v15, v50, v19, -v45
	;; [unrolled: 2-line block ×11, first 2 shown]
	v_fma_f32 v23, v58, v29, -v59
	v_add_f32_e32 v26, v42, v75
	v_add_f32_e32 v27, v14, v21
	v_sub_f32_e32 v14, v14, v21
	v_add_f32_e32 v21, v44, v74
	v_add_f32_e32 v29, v15, v20
	v_fmac_f32_e32 v77, v58, v28
	v_sub_f32_e32 v15, v15, v20
	v_add_f32_e32 v20, v49, v61
	v_add_f32_e32 v31, v18, v19
	v_sub_f32_e32 v18, v19, v18
	v_add_f32_e32 v19, v46, v79
	v_add_f32_e32 v33, v16, v25
	;; [unrolled: 3-line block ×3, first 2 shown]
	v_sub_f32_e32 v30, v44, v74
	v_sub_f32_e32 v32, v61, v49
	;; [unrolled: 1-line block ×3, first 2 shown]
	v_add_f32_e32 v37, v22, v23
	v_sub_f32_e32 v22, v23, v22
	v_add_f32_e32 v23, v21, v26
	v_add_f32_e32 v43, v29, v27
	v_sub_f32_e32 v28, v42, v75
	v_sub_f32_e32 v34, v46, v79
	;; [unrolled: 1-line block ×4, first 2 shown]
	v_add_f32_e32 v24, v76, v77
	v_sub_f32_e32 v44, v21, v26
	v_sub_f32_e32 v26, v26, v20
	v_add_f32_e32 v47, v18, v15
	v_sub_f32_e32 v49, v18, v15
	v_sub_f32_e32 v50, v15, v14
	v_add_f32_e32 v15, v25, v19
	v_add_f32_e32 v51, v35, v33
	v_sub_f32_e32 v45, v29, v27
	v_sub_f32_e32 v27, v27, v31
	;; [unrolled: 1-line block ×4, first 2 shown]
	v_add_f32_e32 v46, v32, v30
	v_sub_f32_e32 v48, v32, v30
	v_sub_f32_e32 v57, v22, v17
	;; [unrolled: 1-line block ×3, first 2 shown]
	v_add_f32_e32 v20, v20, v23
	v_add_f32_e32 v23, v31, v43
	v_sub_f32_e32 v30, v30, v28
	v_add_f32_e32 v54, v42, v36
	v_sub_f32_e32 v56, v42, v36
	v_sub_f32_e32 v36, v36, v34
	;; [unrolled: 1-line block ×8, first 2 shown]
	v_add_f32_e32 v55, v22, v17
	v_mul_f32_e32 v17, 0x3f4a47b2, v26
	v_add_f32_e32 v24, v24, v15
	v_add_f32_e32 v37, v37, v51
	v_sub_f32_e32 v32, v28, v32
	v_sub_f32_e32 v18, v14, v18
	v_sub_f32_e32 v22, v16, v22
	v_add_f32_e32 v28, v46, v28
	v_add_f32_e32 v31, v47, v14
	v_mul_f32_e32 v26, 0x3f4a47b2, v27
	v_mul_f32_e32 v27, 0x3d64c772, v21
	;; [unrolled: 1-line block ×8, first 2 shown]
	s_waitcnt lgkmcnt(0)
	v_add_f32_e32 v14, v38, v20
	v_add_f32_e32 v15, v39, v23
	v_sub_f32_e32 v42, v34, v42
	v_mul_f32_e32 v48, 0x3f5ff5aa, v30
	v_mul_f32_e32 v56, 0x3f08b237, v56
	;; [unrolled: 1-line block ×3, first 2 shown]
	v_add_f32_e32 v51, v55, v16
	v_mul_f32_e32 v19, 0x3f4a47b2, v19
	v_mul_f32_e32 v33, 0x3f4a47b2, v33
	v_fmamk_f32 v21, v21, 0x3d64c772, v17
	v_fma_f32 v39, 0xbf3bfb3b, v44, -v17
	v_add_f32_e32 v16, v40, v24
	v_add_f32_e32 v17, v41, v37
	;; [unrolled: 1-line block ×3, first 2 shown]
	v_mul_f32_e32 v54, 0x3d64c772, v25
	v_mul_f32_e32 v55, 0x3d64c772, v35
	v_fmamk_f32 v29, v29, 0x3d64c772, v26
	v_fma_f32 v27, 0x3f3bfb3b, v44, -v27
	v_fma_f32 v38, 0x3f3bfb3b, v45, -v43
	;; [unrolled: 1-line block ×3, first 2 shown]
	v_fmamk_f32 v44, v18, 0xbeae86e6, v47
	v_fma_f32 v30, 0xbf5ff5aa, v30, -v46
	v_fma_f32 v45, 0xbf5ff5aa, v50, -v47
	v_fmac_f32_e32 v49, 0x3eae86e6, v18
	v_fmamk_f32 v40, v22, 0xbeae86e6, v57
	v_fmac_f32_e32 v60, 0x3eae86e6, v22
	v_fmamk_f32 v20, v20, 0xbf955555, v14
	v_fmamk_f32 v22, v23, 0xbf955555, v15
	;; [unrolled: 1-line block ×3, first 2 shown]
	v_fmac_f32_e32 v48, 0x3eae86e6, v32
	v_fmamk_f32 v41, v42, 0xbeae86e6, v56
	v_fma_f32 v46, 0xbf5ff5aa, v36, -v56
	v_fmac_f32_e32 v59, 0x3eae86e6, v42
	v_fmamk_f32 v18, v25, 0x3d64c772, v19
	v_fmamk_f32 v25, v35, 0x3d64c772, v33
	;; [unrolled: 1-line block ×4, first 2 shown]
	v_fma_f32 v32, 0x3f3bfb3b, v52, -v54
	v_fma_f32 v35, 0x3f3bfb3b, v53, -v55
	v_fma_f32 v19, 0xbf3bfb3b, v52, -v19
	v_fma_f32 v33, 0xbf3bfb3b, v53, -v33
	v_fma_f32 v36, 0xbf5ff5aa, v58, -v57
	v_fmac_f32_e32 v44, 0xbee1c552, v31
	v_fmac_f32_e32 v30, 0xbee1c552, v28
	;; [unrolled: 1-line block ×4, first 2 shown]
	v_add_f32_e32 v27, v27, v20
	v_add_f32_e32 v31, v38, v22
	v_fmac_f32_e32 v48, 0xbee1c552, v28
	v_fmac_f32_e32 v41, 0xbee1c552, v34
	;; [unrolled: 1-line block ×4, first 2 shown]
	v_add_f32_e32 v34, v39, v20
	v_add_f32_e32 v37, v26, v22
	v_fmac_f32_e32 v43, 0xbee1c552, v28
	v_add_f32_e32 v28, v21, v20
	v_add_f32_e32 v29, v29, v22
	v_fmac_f32_e32 v40, 0xbee1c552, v51
	;; [unrolled: 3-line block ×3, first 2 shown]
	v_fmac_f32_e32 v60, 0xbee1c552, v51
	v_add_f32_e32 v38, v32, v23
	v_add_f32_e32 v39, v35, v24
	;; [unrolled: 1-line block ×5, first 2 shown]
	v_sub_f32_e32 v25, v31, v30
	v_sub_f32_e32 v22, v27, v45
	;; [unrolled: 1-line block ×3, first 2 shown]
	v_add_f32_e32 v27, v48, v37
	v_add_f32_e32 v18, v44, v28
	v_sub_f32_e32 v19, v29, v43
	v_sub_f32_e32 v28, v28, v44
	v_add_f32_e32 v29, v43, v29
	v_add_f32_e32 v23, v30, v31
	;; [unrolled: 1-line block ×3, first 2 shown]
	v_sub_f32_e32 v31, v47, v41
	v_add_f32_e32 v20, v49, v34
	v_sub_f32_e32 v21, v37, v48
	v_add_f32_e32 v32, v60, v50
	v_sub_f32_e32 v33, v51, v59
	v_sub_f32_e32 v34, v38, v36
	v_add_f32_e32 v35, v46, v39
	v_add_f32_e32 v36, v36, v38
	v_sub_f32_e32 v37, v39, v46
	v_sub_f32_e32 v38, v50, v60
	v_add_f32_e32 v39, v59, v51
	v_sub_f32_e32 v40, v42, v40
	v_add_f32_e32 v41, v41, v47
	ds_write_b64 v143, v[24:25] offset:6272
	ds_write_b64 v143, v[26:27] offset:7840
	;; [unrolled: 1-line block ×3, first 2 shown]
	ds_write2_b64 v143, v[14:15], v[16:17] offset1:98
	ds_write2_b64 v147, v[18:19], v[30:31] offset0:68 offset1:166
	ds_write2_b64 v145, v[20:21], v[32:33] offset0:136 offset1:234
	;; [unrolled: 1-line block ×3, first 2 shown]
	ds_write_b64 v143, v[36:37] offset:7056
	ds_write_b64 v143, v[38:39] offset:8624
	;; [unrolled: 1-line block ×3, first 2 shown]
	s_waitcnt lgkmcnt(0)
	s_barrier
	buffer_gl0_inv
	ds_read2_b64 v[14:17], v143 offset1:98
	ds_read2_b64 v[18:21], v149 offset0:76 offset1:174
	ds_read2_b64 v[22:25], v148 offset0:16 offset1:114
	;; [unrolled: 1-line block ×6, first 2 shown]
	v_add_co_u32 v12, vcc_lo, v10, s2
	v_add_co_ci_u32_e32 v13, vcc_lo, s0, v11, vcc_lo
	v_add_co_u32 v42, vcc_lo, v12, s1
	v_add_co_ci_u32_e32 v43, vcc_lo, s3, v13, vcc_lo
	;; [unrolled: 2-line block ×3, first 2 shown]
	s_waitcnt lgkmcnt(6)
	v_mul_f32_e32 v50, v101, v15
	v_mul_f32_e32 v51, v101, v14
	s_waitcnt lgkmcnt(5)
	v_mul_f32_e32 v52, v103, v21
	v_mul_f32_e32 v53, v103, v20
	v_mul_f32_e32 v54, v99, v17
	v_mul_f32_e32 v55, v99, v16
	s_waitcnt lgkmcnt(4)
	v_mul_f32_e32 v56, v109, v23
	v_mul_f32_e32 v57, v109, v22
	s_waitcnt lgkmcnt(3)
	v_mul_f32_e32 v58, v97, v27
	v_mul_f32_e32 v59, v97, v26
	;; [unrolled: 1-line block ×4, first 2 shown]
	v_fmac_f32_e32 v50, v100, v14
	v_fma_f32 v51, v100, v15, -v51
	v_mul_f32_e32 v62, v117, v29
	v_mul_f32_e32 v63, v117, v28
	s_waitcnt lgkmcnt(2)
	v_mul_f32_e32 v65, v105, v30
	s_waitcnt lgkmcnt(1)
	v_mul_f32_e32 v67, v113, v34
	v_mul_f32_e32 v69, v115, v32
	;; [unrolled: 1-line block ×3, first 2 shown]
	s_waitcnt lgkmcnt(0)
	v_mul_f32_e32 v75, v119, v38
	v_mul_f32_e32 v76, v121, v19
	;; [unrolled: 1-line block ×3, first 2 shown]
	v_fmac_f32_e32 v52, v102, v20
	v_fma_f32 v20, v102, v21, -v53
	v_mul_f32_e32 v64, v105, v31
	v_fmac_f32_e32 v54, v98, v16
	v_fma_f32 v53, v98, v17, -v55
	v_mul_f32_e32 v66, v113, v35
	v_fmac_f32_e32 v56, v108, v22
	v_fma_f32 v55, v108, v23, -v57
	v_mul_f32_e32 v68, v115, v33
	v_fmac_f32_e32 v58, v96, v26
	v_fma_f32 v57, v96, v27, -v59
	v_mul_f32_e32 v70, v111, v37
	v_fmac_f32_e32 v60, v106, v24
	v_fma_f32 v59, v106, v25, -v61
	v_cvt_f64_f32_e32 v[14:15], v50
	v_cvt_f64_f32_e32 v[16:17], v51
	v_mul_f32_e32 v74, v119, v39
	v_mul_f32_e32 v78, v123, v41
	;; [unrolled: 1-line block ×3, first 2 shown]
	v_fmac_f32_e32 v62, v116, v28
	v_fma_f32 v61, v116, v29, -v63
	v_fma_f32 v63, v104, v31, -v65
	;; [unrolled: 1-line block ×6, first 2 shown]
	v_fmac_f32_e32 v76, v120, v18
	v_fma_f32 v75, v120, v19, -v77
	v_cvt_f64_f32_e32 v[18:19], v52
	v_cvt_f64_f32_e32 v[20:21], v20
	v_fmac_f32_e32 v64, v104, v30
	v_cvt_f64_f32_e32 v[22:23], v54
	v_cvt_f64_f32_e32 v[24:25], v53
	v_fmac_f32_e32 v66, v112, v34
	;; [unrolled: 3-line block ×5, first 2 shown]
	v_fmac_f32_e32 v78, v122, v40
	v_fma_f32 v79, v122, v41, -v79
	v_cvt_f64_f32_e32 v[38:39], v62
	v_cvt_f64_f32_e32 v[40:41], v61
	;; [unrolled: 1-line block ×16, first 2 shown]
	v_mul_f64 v[14:15], v[14:15], s[4:5]
	v_mul_f64 v[16:17], v[16:17], s[4:5]
	;; [unrolled: 1-line block ×28, first 2 shown]
	v_cvt_f32_f64_e32 v14, v[14:15]
	v_cvt_f32_f64_e32 v15, v[16:17]
	v_cvt_f32_f64_e32 v16, v[18:19]
	v_cvt_f32_f64_e32 v17, v[20:21]
	v_cvt_f32_f64_e32 v18, v[22:23]
	v_cvt_f32_f64_e32 v19, v[24:25]
	v_cvt_f32_f64_e32 v20, v[26:27]
	v_cvt_f32_f64_e32 v21, v[28:29]
	v_cvt_f32_f64_e32 v22, v[30:31]
	v_cvt_f32_f64_e32 v23, v[32:33]
	v_add_co_u32 v46, vcc_lo, v44, s1
	v_cvt_f32_f64_e32 v24, v[34:35]
	v_cvt_f32_f64_e32 v25, v[36:37]
	v_cvt_f32_f64_e32 v26, v[38:39]
	v_cvt_f32_f64_e32 v27, v[40:41]
	v_add_co_ci_u32_e32 v47, vcc_lo, s3, v45, vcc_lo
	v_cvt_f32_f64_e32 v28, v[50:51]
	v_cvt_f32_f64_e32 v29, v[52:53]
	;; [unrolled: 1-line block ×6, first 2 shown]
	v_add_co_u32 v48, vcc_lo, v46, s2
	v_cvt_f32_f64_e32 v34, v[62:63]
	v_cvt_f32_f64_e32 v35, v[64:65]
	;; [unrolled: 1-line block ×4, first 2 shown]
	v_add_co_ci_u32_e32 v49, vcc_lo, s0, v47, vcc_lo
	v_cvt_f32_f64_e32 v38, v[70:71]
	v_cvt_f32_f64_e32 v39, v[74:75]
	;; [unrolled: 1-line block ×4, first 2 shown]
	v_add_co_u32 v50, vcc_lo, v48, s1
	v_add_co_ci_u32_e32 v51, vcc_lo, s3, v49, vcc_lo
	v_add_co_u32 v52, vcc_lo, v50, s2
	v_add_co_ci_u32_e32 v53, vcc_lo, s0, v51, vcc_lo
	global_store_dwordx2 v[72:73], v[14:15], off
	global_store_dwordx2 v[0:1], v[16:17], off
	;; [unrolled: 1-line block ×14, first 2 shown]
.LBB0_2:
	s_endpgm
	.section	.rodata,"a",@progbits
	.p2align	6, 0x0
	.amdhsa_kernel bluestein_single_back_len1372_dim1_sp_op_CI_CI
		.amdhsa_group_segment_fixed_size 21952
		.amdhsa_private_segment_fixed_size 0
		.amdhsa_kernarg_size 104
		.amdhsa_user_sgpr_count 6
		.amdhsa_user_sgpr_private_segment_buffer 1
		.amdhsa_user_sgpr_dispatch_ptr 0
		.amdhsa_user_sgpr_queue_ptr 0
		.amdhsa_user_sgpr_kernarg_segment_ptr 1
		.amdhsa_user_sgpr_dispatch_id 0
		.amdhsa_user_sgpr_flat_scratch_init 0
		.amdhsa_user_sgpr_private_segment_size 0
		.amdhsa_wavefront_size32 1
		.amdhsa_uses_dynamic_stack 0
		.amdhsa_system_sgpr_private_segment_wavefront_offset 0
		.amdhsa_system_sgpr_workgroup_id_x 1
		.amdhsa_system_sgpr_workgroup_id_y 0
		.amdhsa_system_sgpr_workgroup_id_z 0
		.amdhsa_system_sgpr_workgroup_info 0
		.amdhsa_system_vgpr_workitem_id 0
		.amdhsa_next_free_vgpr 187
		.amdhsa_next_free_sgpr 20
		.amdhsa_reserve_vcc 1
		.amdhsa_reserve_flat_scratch 0
		.amdhsa_float_round_mode_32 0
		.amdhsa_float_round_mode_16_64 0
		.amdhsa_float_denorm_mode_32 3
		.amdhsa_float_denorm_mode_16_64 3
		.amdhsa_dx10_clamp 1
		.amdhsa_ieee_mode 1
		.amdhsa_fp16_overflow 0
		.amdhsa_workgroup_processor_mode 1
		.amdhsa_memory_ordered 1
		.amdhsa_forward_progress 0
		.amdhsa_shared_vgpr_count 0
		.amdhsa_exception_fp_ieee_invalid_op 0
		.amdhsa_exception_fp_denorm_src 0
		.amdhsa_exception_fp_ieee_div_zero 0
		.amdhsa_exception_fp_ieee_overflow 0
		.amdhsa_exception_fp_ieee_underflow 0
		.amdhsa_exception_fp_ieee_inexact 0
		.amdhsa_exception_int_div_zero 0
	.end_amdhsa_kernel
	.text
.Lfunc_end0:
	.size	bluestein_single_back_len1372_dim1_sp_op_CI_CI, .Lfunc_end0-bluestein_single_back_len1372_dim1_sp_op_CI_CI
                                        ; -- End function
	.section	.AMDGPU.csdata,"",@progbits
; Kernel info:
; codeLenInByte = 13304
; NumSgprs: 22
; NumVgprs: 187
; ScratchSize: 0
; MemoryBound: 0
; FloatMode: 240
; IeeeMode: 1
; LDSByteSize: 21952 bytes/workgroup (compile time only)
; SGPRBlocks: 2
; VGPRBlocks: 23
; NumSGPRsForWavesPerEU: 22
; NumVGPRsForWavesPerEU: 187
; Occupancy: 5
; WaveLimiterHint : 1
; COMPUTE_PGM_RSRC2:SCRATCH_EN: 0
; COMPUTE_PGM_RSRC2:USER_SGPR: 6
; COMPUTE_PGM_RSRC2:TRAP_HANDLER: 0
; COMPUTE_PGM_RSRC2:TGID_X_EN: 1
; COMPUTE_PGM_RSRC2:TGID_Y_EN: 0
; COMPUTE_PGM_RSRC2:TGID_Z_EN: 0
; COMPUTE_PGM_RSRC2:TIDIG_COMP_CNT: 0
	.text
	.p2alignl 6, 3214868480
	.fill 48, 4, 3214868480
	.type	__hip_cuid_bfb1fb0eeb4a8cd8,@object ; @__hip_cuid_bfb1fb0eeb4a8cd8
	.section	.bss,"aw",@nobits
	.globl	__hip_cuid_bfb1fb0eeb4a8cd8
__hip_cuid_bfb1fb0eeb4a8cd8:
	.byte	0                               ; 0x0
	.size	__hip_cuid_bfb1fb0eeb4a8cd8, 1

	.ident	"AMD clang version 19.0.0git (https://github.com/RadeonOpenCompute/llvm-project roc-6.4.0 25133 c7fe45cf4b819c5991fe208aaa96edf142730f1d)"
	.section	".note.GNU-stack","",@progbits
	.addrsig
	.addrsig_sym __hip_cuid_bfb1fb0eeb4a8cd8
	.amdgpu_metadata
---
amdhsa.kernels:
  - .args:
      - .actual_access:  read_only
        .address_space:  global
        .offset:         0
        .size:           8
        .value_kind:     global_buffer
      - .actual_access:  read_only
        .address_space:  global
        .offset:         8
        .size:           8
        .value_kind:     global_buffer
      - .actual_access:  read_only
        .address_space:  global
        .offset:         16
        .size:           8
        .value_kind:     global_buffer
      - .actual_access:  read_only
        .address_space:  global
        .offset:         24
        .size:           8
        .value_kind:     global_buffer
      - .actual_access:  read_only
        .address_space:  global
        .offset:         32
        .size:           8
        .value_kind:     global_buffer
      - .offset:         40
        .size:           8
        .value_kind:     by_value
      - .address_space:  global
        .offset:         48
        .size:           8
        .value_kind:     global_buffer
      - .address_space:  global
        .offset:         56
        .size:           8
        .value_kind:     global_buffer
      - .address_space:  global
        .offset:         64
        .size:           8
        .value_kind:     global_buffer
      - .address_space:  global
        .offset:         72
        .size:           8
        .value_kind:     global_buffer
      - .offset:         80
        .size:           4
        .value_kind:     by_value
      - .address_space:  global
        .offset:         88
        .size:           8
        .value_kind:     global_buffer
      - .address_space:  global
        .offset:         96
        .size:           8
        .value_kind:     global_buffer
    .group_segment_fixed_size: 21952
    .kernarg_segment_align: 8
    .kernarg_segment_size: 104
    .language:       OpenCL C
    .language_version:
      - 2
      - 0
    .max_flat_workgroup_size: 196
    .name:           bluestein_single_back_len1372_dim1_sp_op_CI_CI
    .private_segment_fixed_size: 0
    .sgpr_count:     22
    .sgpr_spill_count: 0
    .symbol:         bluestein_single_back_len1372_dim1_sp_op_CI_CI.kd
    .uniform_work_group_size: 1
    .uses_dynamic_stack: false
    .vgpr_count:     187
    .vgpr_spill_count: 0
    .wavefront_size: 32
    .workgroup_processor_mode: 1
amdhsa.target:   amdgcn-amd-amdhsa--gfx1030
amdhsa.version:
  - 1
  - 2
...

	.end_amdgpu_metadata
